;; amdgpu-corpus repo=LLNL/RAJAPerf kind=compiled arch=gfx1100 opt=O3
	.text
	.amdgcn_target "amdgcn-amd-amdhsa--gfx1100"
	.amdhsa_code_object_version 6
	.section	.text._ZN8rajaperf9polybench13poly_fdtd2d_1ILm256EEEvPdS2_ll,"axG",@progbits,_ZN8rajaperf9polybench13poly_fdtd2d_1ILm256EEEvPdS2_ll,comdat
	.protected	_ZN8rajaperf9polybench13poly_fdtd2d_1ILm256EEEvPdS2_ll ; -- Begin function _ZN8rajaperf9polybench13poly_fdtd2d_1ILm256EEEvPdS2_ll
	.globl	_ZN8rajaperf9polybench13poly_fdtd2d_1ILm256EEEvPdS2_ll
	.p2align	8
	.type	_ZN8rajaperf9polybench13poly_fdtd2d_1ILm256EEEvPdS2_ll,@function
_ZN8rajaperf9polybench13poly_fdtd2d_1ILm256EEEvPdS2_ll: ; @_ZN8rajaperf9polybench13poly_fdtd2d_1ILm256EEEvPdS2_ll
; %bb.0:
	s_load_b256 s[0:7], s[0:1], 0x0
	s_mov_b32 s8, s15
	s_mov_b32 s9, 0
	s_delay_alu instid0(SALU_CYCLE_1) | instskip(NEXT) | instid1(SALU_CYCLE_1)
	s_lshl_b64 s[8:9], s[8:9], 8
	v_or_b32_e32 v0, s8, v0
	v_mov_b32_e32 v1, s9
	s_waitcnt lgkmcnt(0)
	s_delay_alu instid0(VALU_DEP_1)
	v_cmp_gt_i64_e32 vcc_lo, s[4:5], v[0:1]
	s_and_saveexec_b32 s4, vcc_lo
	s_cbranch_execz .LBB0_2
; %bb.1:
	s_lshl_b64 s[4:5], s[6:7], 3
	v_lshlrev_b64 v[0:1], 3, v[0:1]
	s_add_u32 s2, s2, s4
	s_addc_u32 s3, s3, s5
	s_load_b64 s[2:3], s[2:3], 0x0
	s_delay_alu instid0(VALU_DEP_1) | instskip(NEXT) | instid1(VALU_DEP_2)
	v_add_co_u32 v0, vcc_lo, s0, v0
	v_add_co_ci_u32_e32 v1, vcc_lo, s1, v1, vcc_lo
	s_waitcnt lgkmcnt(0)
	v_dual_mov_b32 v2, s2 :: v_dual_mov_b32 v3, s3
	global_store_b64 v[0:1], v[2:3], off
.LBB0_2:
	s_nop 0
	s_sendmsg sendmsg(MSG_DEALLOC_VGPRS)
	s_endpgm
	.section	.rodata,"a",@progbits
	.p2align	6, 0x0
	.amdhsa_kernel _ZN8rajaperf9polybench13poly_fdtd2d_1ILm256EEEvPdS2_ll
		.amdhsa_group_segment_fixed_size 0
		.amdhsa_private_segment_fixed_size 0
		.amdhsa_kernarg_size 32
		.amdhsa_user_sgpr_count 15
		.amdhsa_user_sgpr_dispatch_ptr 0
		.amdhsa_user_sgpr_queue_ptr 0
		.amdhsa_user_sgpr_kernarg_segment_ptr 1
		.amdhsa_user_sgpr_dispatch_id 0
		.amdhsa_user_sgpr_private_segment_size 0
		.amdhsa_wavefront_size32 1
		.amdhsa_uses_dynamic_stack 0
		.amdhsa_enable_private_segment 0
		.amdhsa_system_sgpr_workgroup_id_x 1
		.amdhsa_system_sgpr_workgroup_id_y 0
		.amdhsa_system_sgpr_workgroup_id_z 0
		.amdhsa_system_sgpr_workgroup_info 0
		.amdhsa_system_vgpr_workitem_id 0
		.amdhsa_next_free_vgpr 4
		.amdhsa_next_free_sgpr 16
		.amdhsa_reserve_vcc 1
		.amdhsa_float_round_mode_32 0
		.amdhsa_float_round_mode_16_64 0
		.amdhsa_float_denorm_mode_32 3
		.amdhsa_float_denorm_mode_16_64 3
		.amdhsa_dx10_clamp 1
		.amdhsa_ieee_mode 1
		.amdhsa_fp16_overflow 0
		.amdhsa_workgroup_processor_mode 1
		.amdhsa_memory_ordered 1
		.amdhsa_forward_progress 0
		.amdhsa_shared_vgpr_count 0
		.amdhsa_exception_fp_ieee_invalid_op 0
		.amdhsa_exception_fp_denorm_src 0
		.amdhsa_exception_fp_ieee_div_zero 0
		.amdhsa_exception_fp_ieee_overflow 0
		.amdhsa_exception_fp_ieee_underflow 0
		.amdhsa_exception_fp_ieee_inexact 0
		.amdhsa_exception_int_div_zero 0
	.end_amdhsa_kernel
	.section	.text._ZN8rajaperf9polybench13poly_fdtd2d_1ILm256EEEvPdS2_ll,"axG",@progbits,_ZN8rajaperf9polybench13poly_fdtd2d_1ILm256EEEvPdS2_ll,comdat
.Lfunc_end0:
	.size	_ZN8rajaperf9polybench13poly_fdtd2d_1ILm256EEEvPdS2_ll, .Lfunc_end0-_ZN8rajaperf9polybench13poly_fdtd2d_1ILm256EEEvPdS2_ll
                                        ; -- End function
	.section	.AMDGPU.csdata,"",@progbits
; Kernel info:
; codeLenInByte = 128
; NumSgprs: 18
; NumVgprs: 4
; ScratchSize: 0
; MemoryBound: 0
; FloatMode: 240
; IeeeMode: 1
; LDSByteSize: 0 bytes/workgroup (compile time only)
; SGPRBlocks: 2
; VGPRBlocks: 0
; NumSGPRsForWavesPerEU: 18
; NumVGPRsForWavesPerEU: 4
; Occupancy: 16
; WaveLimiterHint : 0
; COMPUTE_PGM_RSRC2:SCRATCH_EN: 0
; COMPUTE_PGM_RSRC2:USER_SGPR: 15
; COMPUTE_PGM_RSRC2:TRAP_HANDLER: 0
; COMPUTE_PGM_RSRC2:TGID_X_EN: 1
; COMPUTE_PGM_RSRC2:TGID_Y_EN: 0
; COMPUTE_PGM_RSRC2:TGID_Z_EN: 0
; COMPUTE_PGM_RSRC2:TIDIG_COMP_CNT: 0
	.section	.text._ZN8rajaperf9polybench13poly_fdtd2d_2ILm32ELm8EEEvPdS2_ll,"axG",@progbits,_ZN8rajaperf9polybench13poly_fdtd2d_2ILm32ELm8EEEvPdS2_ll,comdat
	.protected	_ZN8rajaperf9polybench13poly_fdtd2d_2ILm32ELm8EEEvPdS2_ll ; -- Begin function _ZN8rajaperf9polybench13poly_fdtd2d_2ILm32ELm8EEEvPdS2_ll
	.globl	_ZN8rajaperf9polybench13poly_fdtd2d_2ILm32ELm8EEEvPdS2_ll
	.p2align	8
	.type	_ZN8rajaperf9polybench13poly_fdtd2d_2ILm32ELm8EEEvPdS2_ll,@function
_ZN8rajaperf9polybench13poly_fdtd2d_2ILm32ELm8EEEvPdS2_ll: ; @_ZN8rajaperf9polybench13poly_fdtd2d_2ILm32ELm8EEEvPdS2_ll
; %bb.0:
	s_load_b256 s[4:11], s[0:1], 0x0
	v_bfe_u32 v1, v0, 10, 10
	s_mov_b32 s2, s15
	s_mov_b32 s3, 0
	v_and_b32_e32 v0, 0x3ff, v0
	s_mov_b32 s15, s3
	s_lshl_b64 s[0:1], s[2:3], 3
	s_lshl_b64 s[2:3], s[14:15], 5
	v_add_co_u32 v2, s0, s0, v1
	s_delay_alu instid0(VALU_DEP_1) | instskip(SKIP_1) | instid1(VALU_DEP_1)
	v_add_co_ci_u32_e64 v3, null, s1, 0, s0
	v_add_co_u32 v0, s0, s2, v0
	v_add_co_ci_u32_e64 v1, null, s3, 0, s0
	s_delay_alu instid0(VALU_DEP_3) | instskip(SKIP_2) | instid1(VALU_DEP_3)
	v_cmp_ne_u64_e64 s1, 0, v[2:3]
	s_waitcnt lgkmcnt(0)
	v_cmp_gt_i64_e32 vcc_lo, s[8:9], v[2:3]
	v_cmp_gt_i64_e64 s0, s[10:11], v[0:1]
	s_delay_alu instid0(VALU_DEP_1)
	s_and_b32 s0, vcc_lo, s0
	s_delay_alu instid0(VALU_DEP_3) | instid1(SALU_CYCLE_1)
	s_and_b32 s0, s0, s1
	s_delay_alu instid0(SALU_CYCLE_1)
	s_and_saveexec_b32 s1, s0
	s_cbranch_execz .LBB1_2
; %bb.1:
	v_mul_lo_u32 v5, v3, s10
	v_mul_lo_u32 v6, v2, s11
	v_mad_u64_u32 v[3:4], null, v2, s10, 0
	s_delay_alu instid0(VALU_DEP_1) | instskip(SKIP_1) | instid1(VALU_DEP_3)
	v_add3_u32 v6, v4, v6, v5
	v_lshlrev_b64 v[4:5], 3, v[0:1]
	v_add_co_u32 v0, vcc_lo, v3, v0
	s_delay_alu instid0(VALU_DEP_3) | instskip(SKIP_2) | instid1(VALU_DEP_3)
	v_add_co_ci_u32_e32 v1, vcc_lo, v6, v1, vcc_lo
	v_sub_co_u32 v2, vcc_lo, v3, s10
	v_subrev_co_ci_u32_e32 v3, vcc_lo, s11, v6, vcc_lo
	v_lshlrev_b64 v[0:1], 3, v[0:1]
	v_add_co_u32 v6, vcc_lo, s6, v4
	s_delay_alu instid0(VALU_DEP_3) | instskip(SKIP_1) | instid1(VALU_DEP_4)
	v_lshlrev_b64 v[2:3], 3, v[2:3]
	v_add_co_ci_u32_e32 v7, vcc_lo, s7, v5, vcc_lo
	v_add_co_u32 v4, vcc_lo, s6, v0
	v_add_co_ci_u32_e32 v5, vcc_lo, s7, v1, vcc_lo
	s_delay_alu instid0(VALU_DEP_4) | instskip(NEXT) | instid1(VALU_DEP_4)
	v_add_co_u32 v2, vcc_lo, v6, v2
	v_add_co_ci_u32_e32 v3, vcc_lo, v7, v3, vcc_lo
	s_clause 0x1
	global_load_b64 v[4:5], v[4:5], off
	global_load_b64 v[2:3], v[2:3], off
	v_add_co_u32 v0, vcc_lo, s4, v0
	v_add_co_ci_u32_e32 v1, vcc_lo, s5, v1, vcc_lo
	global_load_b64 v[6:7], v[0:1], off
	s_waitcnt vmcnt(1)
	v_add_f64 v[2:3], v[4:5], -v[2:3]
	s_waitcnt vmcnt(0)
	s_delay_alu instid0(VALU_DEP_1)
	v_fma_f64 v[2:3], v[2:3], -0.5, v[6:7]
	global_store_b64 v[0:1], v[2:3], off
.LBB1_2:
	s_nop 0
	s_sendmsg sendmsg(MSG_DEALLOC_VGPRS)
	s_endpgm
	.section	.rodata,"a",@progbits
	.p2align	6, 0x0
	.amdhsa_kernel _ZN8rajaperf9polybench13poly_fdtd2d_2ILm32ELm8EEEvPdS2_ll
		.amdhsa_group_segment_fixed_size 0
		.amdhsa_private_segment_fixed_size 0
		.amdhsa_kernarg_size 32
		.amdhsa_user_sgpr_count 14
		.amdhsa_user_sgpr_dispatch_ptr 0
		.amdhsa_user_sgpr_queue_ptr 0
		.amdhsa_user_sgpr_kernarg_segment_ptr 1
		.amdhsa_user_sgpr_dispatch_id 0
		.amdhsa_user_sgpr_private_segment_size 0
		.amdhsa_wavefront_size32 1
		.amdhsa_uses_dynamic_stack 0
		.amdhsa_enable_private_segment 0
		.amdhsa_system_sgpr_workgroup_id_x 1
		.amdhsa_system_sgpr_workgroup_id_y 1
		.amdhsa_system_sgpr_workgroup_id_z 0
		.amdhsa_system_sgpr_workgroup_info 0
		.amdhsa_system_vgpr_workitem_id 1
		.amdhsa_next_free_vgpr 8
		.amdhsa_next_free_sgpr 16
		.amdhsa_reserve_vcc 1
		.amdhsa_float_round_mode_32 0
		.amdhsa_float_round_mode_16_64 0
		.amdhsa_float_denorm_mode_32 3
		.amdhsa_float_denorm_mode_16_64 3
		.amdhsa_dx10_clamp 1
		.amdhsa_ieee_mode 1
		.amdhsa_fp16_overflow 0
		.amdhsa_workgroup_processor_mode 1
		.amdhsa_memory_ordered 1
		.amdhsa_forward_progress 0
		.amdhsa_shared_vgpr_count 0
		.amdhsa_exception_fp_ieee_invalid_op 0
		.amdhsa_exception_fp_denorm_src 0
		.amdhsa_exception_fp_ieee_div_zero 0
		.amdhsa_exception_fp_ieee_overflow 0
		.amdhsa_exception_fp_ieee_underflow 0
		.amdhsa_exception_fp_ieee_inexact 0
		.amdhsa_exception_int_div_zero 0
	.end_amdhsa_kernel
	.section	.text._ZN8rajaperf9polybench13poly_fdtd2d_2ILm32ELm8EEEvPdS2_ll,"axG",@progbits,_ZN8rajaperf9polybench13poly_fdtd2d_2ILm32ELm8EEEvPdS2_ll,comdat
.Lfunc_end1:
	.size	_ZN8rajaperf9polybench13poly_fdtd2d_2ILm32ELm8EEEvPdS2_ll, .Lfunc_end1-_ZN8rajaperf9polybench13poly_fdtd2d_2ILm32ELm8EEEvPdS2_ll
                                        ; -- End function
	.section	.AMDGPU.csdata,"",@progbits
; Kernel info:
; codeLenInByte = 356
; NumSgprs: 18
; NumVgprs: 8
; ScratchSize: 0
; MemoryBound: 0
; FloatMode: 240
; IeeeMode: 1
; LDSByteSize: 0 bytes/workgroup (compile time only)
; SGPRBlocks: 2
; VGPRBlocks: 0
; NumSGPRsForWavesPerEU: 18
; NumVGPRsForWavesPerEU: 8
; Occupancy: 16
; WaveLimiterHint : 0
; COMPUTE_PGM_RSRC2:SCRATCH_EN: 0
; COMPUTE_PGM_RSRC2:USER_SGPR: 14
; COMPUTE_PGM_RSRC2:TRAP_HANDLER: 0
; COMPUTE_PGM_RSRC2:TGID_X_EN: 1
; COMPUTE_PGM_RSRC2:TGID_Y_EN: 1
; COMPUTE_PGM_RSRC2:TGID_Z_EN: 0
; COMPUTE_PGM_RSRC2:TIDIG_COMP_CNT: 1
	.section	.text._ZN8rajaperf9polybench13poly_fdtd2d_3ILm32ELm8EEEvPdS2_ll,"axG",@progbits,_ZN8rajaperf9polybench13poly_fdtd2d_3ILm32ELm8EEEvPdS2_ll,comdat
	.protected	_ZN8rajaperf9polybench13poly_fdtd2d_3ILm32ELm8EEEvPdS2_ll ; -- Begin function _ZN8rajaperf9polybench13poly_fdtd2d_3ILm32ELm8EEEvPdS2_ll
	.globl	_ZN8rajaperf9polybench13poly_fdtd2d_3ILm32ELm8EEEvPdS2_ll
	.p2align	8
	.type	_ZN8rajaperf9polybench13poly_fdtd2d_3ILm32ELm8EEEvPdS2_ll,@function
_ZN8rajaperf9polybench13poly_fdtd2d_3ILm32ELm8EEEvPdS2_ll: ; @_ZN8rajaperf9polybench13poly_fdtd2d_3ILm32ELm8EEEvPdS2_ll
; %bb.0:
	s_load_b256 s[4:11], s[0:1], 0x0
	s_mov_b32 s3, 0
	v_and_b32_e32 v1, 0x3ff, v0
	s_mov_b32 s2, s15
	s_mov_b32 s15, s3
	v_bfe_u32 v2, v0, 10, 10
	s_lshl_b64 s[0:1], s[2:3], 3
	s_lshl_b64 s[2:3], s[14:15], 5
	s_delay_alu instid0(SALU_CYCLE_1) | instskip(NEXT) | instid1(VALU_DEP_1)
	v_add_co_u32 v0, s2, s2, v1
	v_add_co_ci_u32_e64 v1, null, s3, 0, s2
	v_add_co_u32 v2, s0, s0, v2
	s_delay_alu instid0(VALU_DEP_1) | instskip(NEXT) | instid1(VALU_DEP_3)
	v_add_co_ci_u32_e64 v3, null, s1, 0, s0
	v_cmp_ne_u64_e32 vcc_lo, 0, v[0:1]
	s_waitcnt lgkmcnt(0)
	v_cmp_gt_i64_e64 s0, s[10:11], v[0:1]
	s_delay_alu instid0(VALU_DEP_3) | instskip(NEXT) | instid1(VALU_DEP_2)
	v_cmp_gt_i64_e64 s1, s[8:9], v[2:3]
	s_and_b32 s0, vcc_lo, s0
	s_delay_alu instid0(VALU_DEP_1) | instid1(SALU_CYCLE_1)
	s_and_b32 s0, s1, s0
	s_delay_alu instid0(SALU_CYCLE_1)
	s_and_saveexec_b32 s1, s0
	s_cbranch_execz .LBB2_2
; %bb.1:
	v_mul_lo_u32 v5, v3, s10
	v_mul_lo_u32 v6, v2, s11
	v_mad_u64_u32 v[3:4], null, v2, s10, 0
	s_delay_alu instid0(VALU_DEP_1) | instskip(SKIP_1) | instid1(VALU_DEP_2)
	v_add3_u32 v4, v4, v6, v5
	v_lshlrev_b64 v[5:6], 3, v[0:1]
	v_lshlrev_b64 v[7:8], 3, v[3:4]
	s_delay_alu instid0(VALU_DEP_2) | instskip(NEXT) | instid1(VALU_DEP_3)
	v_add_co_u32 v0, vcc_lo, s6, v5
	v_add_co_ci_u32_e32 v1, vcc_lo, s7, v6, vcc_lo
	s_delay_alu instid0(VALU_DEP_2) | instskip(NEXT) | instid1(VALU_DEP_2)
	v_add_co_u32 v0, vcc_lo, v0, v7
	v_add_co_ci_u32_e32 v1, vcc_lo, v1, v8, vcc_lo
	v_add_co_u32 v4, vcc_lo, s4, v7
	v_add_co_ci_u32_e32 v7, vcc_lo, s5, v8, vcc_lo
	global_load_b128 v[0:3], v[0:1], off offset:-8
	v_add_co_u32 v4, vcc_lo, v4, v5
	v_add_co_ci_u32_e32 v5, vcc_lo, v7, v6, vcc_lo
	global_load_b64 v[6:7], v[4:5], off
	s_waitcnt vmcnt(1)
	v_add_f64 v[0:1], v[2:3], -v[0:1]
	s_waitcnt vmcnt(0)
	s_delay_alu instid0(VALU_DEP_1)
	v_fma_f64 v[0:1], v[0:1], -0.5, v[6:7]
	global_store_b64 v[4:5], v[0:1], off
.LBB2_2:
	s_nop 0
	s_sendmsg sendmsg(MSG_DEALLOC_VGPRS)
	s_endpgm
	.section	.rodata,"a",@progbits
	.p2align	6, 0x0
	.amdhsa_kernel _ZN8rajaperf9polybench13poly_fdtd2d_3ILm32ELm8EEEvPdS2_ll
		.amdhsa_group_segment_fixed_size 0
		.amdhsa_private_segment_fixed_size 0
		.amdhsa_kernarg_size 32
		.amdhsa_user_sgpr_count 14
		.amdhsa_user_sgpr_dispatch_ptr 0
		.amdhsa_user_sgpr_queue_ptr 0
		.amdhsa_user_sgpr_kernarg_segment_ptr 1
		.amdhsa_user_sgpr_dispatch_id 0
		.amdhsa_user_sgpr_private_segment_size 0
		.amdhsa_wavefront_size32 1
		.amdhsa_uses_dynamic_stack 0
		.amdhsa_enable_private_segment 0
		.amdhsa_system_sgpr_workgroup_id_x 1
		.amdhsa_system_sgpr_workgroup_id_y 1
		.amdhsa_system_sgpr_workgroup_id_z 0
		.amdhsa_system_sgpr_workgroup_info 0
		.amdhsa_system_vgpr_workitem_id 1
		.amdhsa_next_free_vgpr 9
		.amdhsa_next_free_sgpr 16
		.amdhsa_reserve_vcc 1
		.amdhsa_float_round_mode_32 0
		.amdhsa_float_round_mode_16_64 0
		.amdhsa_float_denorm_mode_32 3
		.amdhsa_float_denorm_mode_16_64 3
		.amdhsa_dx10_clamp 1
		.amdhsa_ieee_mode 1
		.amdhsa_fp16_overflow 0
		.amdhsa_workgroup_processor_mode 1
		.amdhsa_memory_ordered 1
		.amdhsa_forward_progress 0
		.amdhsa_shared_vgpr_count 0
		.amdhsa_exception_fp_ieee_invalid_op 0
		.amdhsa_exception_fp_denorm_src 0
		.amdhsa_exception_fp_ieee_div_zero 0
		.amdhsa_exception_fp_ieee_overflow 0
		.amdhsa_exception_fp_ieee_underflow 0
		.amdhsa_exception_fp_ieee_inexact 0
		.amdhsa_exception_int_div_zero 0
	.end_amdhsa_kernel
	.section	.text._ZN8rajaperf9polybench13poly_fdtd2d_3ILm32ELm8EEEvPdS2_ll,"axG",@progbits,_ZN8rajaperf9polybench13poly_fdtd2d_3ILm32ELm8EEEvPdS2_ll,comdat
.Lfunc_end2:
	.size	_ZN8rajaperf9polybench13poly_fdtd2d_3ILm32ELm8EEEvPdS2_ll, .Lfunc_end2-_ZN8rajaperf9polybench13poly_fdtd2d_3ILm32ELm8EEEvPdS2_ll
                                        ; -- End function
	.section	.AMDGPU.csdata,"",@progbits
; Kernel info:
; codeLenInByte = 308
; NumSgprs: 18
; NumVgprs: 9
; ScratchSize: 0
; MemoryBound: 0
; FloatMode: 240
; IeeeMode: 1
; LDSByteSize: 0 bytes/workgroup (compile time only)
; SGPRBlocks: 2
; VGPRBlocks: 1
; NumSGPRsForWavesPerEU: 18
; NumVGPRsForWavesPerEU: 9
; Occupancy: 16
; WaveLimiterHint : 0
; COMPUTE_PGM_RSRC2:SCRATCH_EN: 0
; COMPUTE_PGM_RSRC2:USER_SGPR: 14
; COMPUTE_PGM_RSRC2:TRAP_HANDLER: 0
; COMPUTE_PGM_RSRC2:TGID_X_EN: 1
; COMPUTE_PGM_RSRC2:TGID_Y_EN: 1
; COMPUTE_PGM_RSRC2:TGID_Z_EN: 0
; COMPUTE_PGM_RSRC2:TIDIG_COMP_CNT: 1
	.section	.text._ZN8rajaperf9polybench13poly_fdtd2d_4ILm32ELm8EEEvPdS2_S2_ll,"axG",@progbits,_ZN8rajaperf9polybench13poly_fdtd2d_4ILm32ELm8EEEvPdS2_S2_ll,comdat
	.protected	_ZN8rajaperf9polybench13poly_fdtd2d_4ILm32ELm8EEEvPdS2_S2_ll ; -- Begin function _ZN8rajaperf9polybench13poly_fdtd2d_4ILm32ELm8EEEvPdS2_S2_ll
	.globl	_ZN8rajaperf9polybench13poly_fdtd2d_4ILm32ELm8EEEvPdS2_S2_ll
	.p2align	8
	.type	_ZN8rajaperf9polybench13poly_fdtd2d_4ILm32ELm8EEEvPdS2_S2_ll,@function
_ZN8rajaperf9polybench13poly_fdtd2d_4ILm32ELm8EEEvPdS2_S2_ll: ; @_ZN8rajaperf9polybench13poly_fdtd2d_4ILm32ELm8EEEvPdS2_S2_ll
; %bb.0:
	s_clause 0x1
	s_load_b256 s[4:11], s[0:1], 0x0
	s_load_b64 s[2:3], s[0:1], 0x20
	v_bfe_u32 v1, v0, 10, 10
	s_mov_b32 s12, s15
	s_mov_b32 s13, 0
	v_and_b32_e32 v0, 0x3ff, v0
	s_lshl_b64 s[0:1], s[12:13], 3
	s_mov_b32 s15, s13
	v_add_co_u32 v2, s0, s0, v1
	s_delay_alu instid0(VALU_DEP_1) | instskip(SKIP_1) | instid1(SALU_CYCLE_1)
	v_add_co_ci_u32_e64 v3, null, s1, 0, s0
	s_lshl_b64 s[0:1], s[14:15], 5
	v_add_co_u32 v0, s0, s0, v0
	s_delay_alu instid0(VALU_DEP_1)
	v_add_co_ci_u32_e64 v1, null, s1, 0, s0
	s_waitcnt lgkmcnt(0)
	s_add_u32 s0, s10, -1
	s_addc_u32 s1, s11, -1
	s_add_u32 s10, s2, -1
	s_addc_u32 s11, s3, -1
	v_cmp_gt_i64_e32 vcc_lo, s[0:1], v[2:3]
	v_cmp_gt_i64_e64 s0, s[10:11], v[0:1]
	s_delay_alu instid0(VALU_DEP_1) | instskip(NEXT) | instid1(SALU_CYCLE_1)
	s_and_b32 s0, vcc_lo, s0
	s_and_saveexec_b32 s1, s0
	s_cbranch_execz .LBB3_2
; %bb.1:
	v_mul_lo_u32 v3, v3, s2
	v_mul_lo_u32 v4, v2, s3
	v_mad_u64_u32 v[6:7], null, v2, s2, 0
	s_mov_b32 s0, 0x66666666
	s_mov_b32 s1, 0xbfe66666
	s_delay_alu instid0(VALU_DEP_1) | instskip(NEXT) | instid1(VALU_DEP_2)
	v_add3_u32 v7, v7, v4, v3
	v_add_co_u32 v2, vcc_lo, v6, v0
	s_delay_alu instid0(VALU_DEP_2) | instskip(SKIP_1) | instid1(VALU_DEP_2)
	v_add_co_ci_u32_e32 v3, vcc_lo, v7, v1, vcc_lo
	v_lshlrev_b64 v[0:1], 3, v[0:1]
	v_lshlrev_b64 v[8:9], 3, v[2:3]
	s_delay_alu instid0(VALU_DEP_1) | instskip(NEXT) | instid1(VALU_DEP_2)
	v_add_co_u32 v2, vcc_lo, s6, v8
	v_add_co_ci_u32_e32 v3, vcc_lo, s7, v9, vcc_lo
	v_add_co_u32 v10, vcc_lo, v6, s2
	v_add_co_ci_u32_e32 v11, vcc_lo, s3, v7, vcc_lo
	global_load_b128 v[2:5], v[2:3], off
	v_add_co_u32 v12, vcc_lo, s8, v0
	v_lshlrev_b64 v[10:11], 3, v[10:11]
	v_add_co_ci_u32_e32 v13, vcc_lo, s9, v1, vcc_lo
	v_lshlrev_b64 v[6:7], 3, v[6:7]
	s_delay_alu instid0(VALU_DEP_3) | instskip(NEXT) | instid1(VALU_DEP_3)
	v_add_co_u32 v0, vcc_lo, v12, v10
	v_add_co_ci_u32_e32 v1, vcc_lo, v13, v11, vcc_lo
	s_delay_alu instid0(VALU_DEP_3) | instskip(NEXT) | instid1(VALU_DEP_4)
	v_add_co_u32 v6, vcc_lo, v12, v6
	v_add_co_ci_u32_e32 v7, vcc_lo, v13, v7, vcc_lo
	global_load_b64 v[0:1], v[0:1], off
	v_add_co_u32 v8, vcc_lo, s4, v8
	global_load_b64 v[6:7], v[6:7], off
	v_add_co_ci_u32_e32 v9, vcc_lo, s5, v9, vcc_lo
	global_load_b64 v[10:11], v[8:9], off
	s_waitcnt vmcnt(3)
	v_add_f64 v[2:3], v[4:5], -v[2:3]
	s_waitcnt vmcnt(2)
	s_delay_alu instid0(VALU_DEP_1) | instskip(SKIP_1) | instid1(VALU_DEP_1)
	v_add_f64 v[0:1], v[2:3], v[0:1]
	s_waitcnt vmcnt(1)
	v_add_f64 v[0:1], v[0:1], -v[6:7]
	s_waitcnt vmcnt(0)
	s_delay_alu instid0(VALU_DEP_1)
	v_fma_f64 v[0:1], v[0:1], s[0:1], v[10:11]
	global_store_b64 v[8:9], v[0:1], off
.LBB3_2:
	s_nop 0
	s_sendmsg sendmsg(MSG_DEALLOC_VGPRS)
	s_endpgm
	.section	.rodata,"a",@progbits
	.p2align	6, 0x0
	.amdhsa_kernel _ZN8rajaperf9polybench13poly_fdtd2d_4ILm32ELm8EEEvPdS2_S2_ll
		.amdhsa_group_segment_fixed_size 0
		.amdhsa_private_segment_fixed_size 0
		.amdhsa_kernarg_size 40
		.amdhsa_user_sgpr_count 14
		.amdhsa_user_sgpr_dispatch_ptr 0
		.amdhsa_user_sgpr_queue_ptr 0
		.amdhsa_user_sgpr_kernarg_segment_ptr 1
		.amdhsa_user_sgpr_dispatch_id 0
		.amdhsa_user_sgpr_private_segment_size 0
		.amdhsa_wavefront_size32 1
		.amdhsa_uses_dynamic_stack 0
		.amdhsa_enable_private_segment 0
		.amdhsa_system_sgpr_workgroup_id_x 1
		.amdhsa_system_sgpr_workgroup_id_y 1
		.amdhsa_system_sgpr_workgroup_id_z 0
		.amdhsa_system_sgpr_workgroup_info 0
		.amdhsa_system_vgpr_workitem_id 1
		.amdhsa_next_free_vgpr 14
		.amdhsa_next_free_sgpr 16
		.amdhsa_reserve_vcc 1
		.amdhsa_float_round_mode_32 0
		.amdhsa_float_round_mode_16_64 0
		.amdhsa_float_denorm_mode_32 3
		.amdhsa_float_denorm_mode_16_64 3
		.amdhsa_dx10_clamp 1
		.amdhsa_ieee_mode 1
		.amdhsa_fp16_overflow 0
		.amdhsa_workgroup_processor_mode 1
		.amdhsa_memory_ordered 1
		.amdhsa_forward_progress 0
		.amdhsa_shared_vgpr_count 0
		.amdhsa_exception_fp_ieee_invalid_op 0
		.amdhsa_exception_fp_denorm_src 0
		.amdhsa_exception_fp_ieee_div_zero 0
		.amdhsa_exception_fp_ieee_overflow 0
		.amdhsa_exception_fp_ieee_underflow 0
		.amdhsa_exception_fp_ieee_inexact 0
		.amdhsa_exception_int_div_zero 0
	.end_amdhsa_kernel
	.section	.text._ZN8rajaperf9polybench13poly_fdtd2d_4ILm32ELm8EEEvPdS2_S2_ll,"axG",@progbits,_ZN8rajaperf9polybench13poly_fdtd2d_4ILm32ELm8EEEvPdS2_S2_ll,comdat
.Lfunc_end3:
	.size	_ZN8rajaperf9polybench13poly_fdtd2d_4ILm32ELm8EEEvPdS2_S2_ll, .Lfunc_end3-_ZN8rajaperf9polybench13poly_fdtd2d_4ILm32ELm8EEEvPdS2_S2_ll
                                        ; -- End function
	.section	.AMDGPU.csdata,"",@progbits
; Kernel info:
; codeLenInByte = 436
; NumSgprs: 18
; NumVgprs: 14
; ScratchSize: 0
; MemoryBound: 0
; FloatMode: 240
; IeeeMode: 1
; LDSByteSize: 0 bytes/workgroup (compile time only)
; SGPRBlocks: 2
; VGPRBlocks: 1
; NumSGPRsForWavesPerEU: 18
; NumVGPRsForWavesPerEU: 14
; Occupancy: 16
; WaveLimiterHint : 0
; COMPUTE_PGM_RSRC2:SCRATCH_EN: 0
; COMPUTE_PGM_RSRC2:USER_SGPR: 14
; COMPUTE_PGM_RSRC2:TRAP_HANDLER: 0
; COMPUTE_PGM_RSRC2:TGID_X_EN: 1
; COMPUTE_PGM_RSRC2:TGID_Y_EN: 1
; COMPUTE_PGM_RSRC2:TGID_Z_EN: 0
; COMPUTE_PGM_RSRC2:TIDIG_COMP_CNT: 1
	.section	.text._ZN8rajaperf9polybench17poly_fdtd2d_1_lamILm256EZNS0_17POLYBENCH_FDTD_2D17runHipVariantImplILm256EEEvNS_9VariantIDEEUllE_EEvlT0_,"axG",@progbits,_ZN8rajaperf9polybench17poly_fdtd2d_1_lamILm256EZNS0_17POLYBENCH_FDTD_2D17runHipVariantImplILm256EEEvNS_9VariantIDEEUllE_EEvlT0_,comdat
	.protected	_ZN8rajaperf9polybench17poly_fdtd2d_1_lamILm256EZNS0_17POLYBENCH_FDTD_2D17runHipVariantImplILm256EEEvNS_9VariantIDEEUllE_EEvlT0_ ; -- Begin function _ZN8rajaperf9polybench17poly_fdtd2d_1_lamILm256EZNS0_17POLYBENCH_FDTD_2D17runHipVariantImplILm256EEEvNS_9VariantIDEEUllE_EEvlT0_
	.globl	_ZN8rajaperf9polybench17poly_fdtd2d_1_lamILm256EZNS0_17POLYBENCH_FDTD_2D17runHipVariantImplILm256EEEvNS_9VariantIDEEUllE_EEvlT0_
	.p2align	8
	.type	_ZN8rajaperf9polybench17poly_fdtd2d_1_lamILm256EZNS0_17POLYBENCH_FDTD_2D17runHipVariantImplILm256EEEvNS_9VariantIDEEUllE_EEvlT0_,@function
_ZN8rajaperf9polybench17poly_fdtd2d_1_lamILm256EZNS0_17POLYBENCH_FDTD_2D17runHipVariantImplILm256EEEvNS_9VariantIDEEUllE_EEvlT0_: ; @_ZN8rajaperf9polybench17poly_fdtd2d_1_lamILm256EZNS0_17POLYBENCH_FDTD_2D17runHipVariantImplILm256EEEvNS_9VariantIDEEUllE_EEvlT0_
; %bb.0:
	s_load_b64 s[4:5], s[0:1], 0x0
	s_mov_b32 s2, s15
	s_mov_b32 s3, 0
	s_delay_alu instid0(SALU_CYCLE_1) | instskip(NEXT) | instid1(SALU_CYCLE_1)
	s_lshl_b64 s[2:3], s[2:3], 8
	v_or_b32_e32 v0, s2, v0
	v_mov_b32_e32 v1, s3
	s_mov_b32 s2, exec_lo
	s_waitcnt lgkmcnt(0)
	s_delay_alu instid0(VALU_DEP_1)
	v_cmpx_gt_i64_e64 s[4:5], v[0:1]
	s_cbranch_execz .LBB4_2
; %bb.1:
	s_clause 0x1
	s_load_b128 s[4:7], s[0:1], 0x18
	s_load_b64 s[0:1], s[0:1], 0x8
	v_lshlrev_b64 v[0:1], 3, v[0:1]
	s_waitcnt lgkmcnt(0)
	s_lshl_b64 s[2:3], s[6:7], 3
	s_delay_alu instid0(VALU_DEP_1)
	v_add_co_u32 v0, vcc_lo, s0, v0
	s_add_u32 s2, s4, s2
	s_addc_u32 s3, s5, s3
	v_add_co_ci_u32_e32 v1, vcc_lo, s1, v1, vcc_lo
	s_load_b64 s[2:3], s[2:3], 0x0
	s_waitcnt lgkmcnt(0)
	v_dual_mov_b32 v2, s2 :: v_dual_mov_b32 v3, s3
	global_store_b64 v[0:1], v[2:3], off
.LBB4_2:
	s_nop 0
	s_sendmsg sendmsg(MSG_DEALLOC_VGPRS)
	s_endpgm
	.section	.rodata,"a",@progbits
	.p2align	6, 0x0
	.amdhsa_kernel _ZN8rajaperf9polybench17poly_fdtd2d_1_lamILm256EZNS0_17POLYBENCH_FDTD_2D17runHipVariantImplILm256EEEvNS_9VariantIDEEUllE_EEvlT0_
		.amdhsa_group_segment_fixed_size 0
		.amdhsa_private_segment_fixed_size 0
		.amdhsa_kernarg_size 40
		.amdhsa_user_sgpr_count 15
		.amdhsa_user_sgpr_dispatch_ptr 0
		.amdhsa_user_sgpr_queue_ptr 0
		.amdhsa_user_sgpr_kernarg_segment_ptr 1
		.amdhsa_user_sgpr_dispatch_id 0
		.amdhsa_user_sgpr_private_segment_size 0
		.amdhsa_wavefront_size32 1
		.amdhsa_uses_dynamic_stack 0
		.amdhsa_enable_private_segment 0
		.amdhsa_system_sgpr_workgroup_id_x 1
		.amdhsa_system_sgpr_workgroup_id_y 0
		.amdhsa_system_sgpr_workgroup_id_z 0
		.amdhsa_system_sgpr_workgroup_info 0
		.amdhsa_system_vgpr_workitem_id 0
		.amdhsa_next_free_vgpr 4
		.amdhsa_next_free_sgpr 16
		.amdhsa_reserve_vcc 1
		.amdhsa_float_round_mode_32 0
		.amdhsa_float_round_mode_16_64 0
		.amdhsa_float_denorm_mode_32 3
		.amdhsa_float_denorm_mode_16_64 3
		.amdhsa_dx10_clamp 1
		.amdhsa_ieee_mode 1
		.amdhsa_fp16_overflow 0
		.amdhsa_workgroup_processor_mode 1
		.amdhsa_memory_ordered 1
		.amdhsa_forward_progress 0
		.amdhsa_shared_vgpr_count 0
		.amdhsa_exception_fp_ieee_invalid_op 0
		.amdhsa_exception_fp_denorm_src 0
		.amdhsa_exception_fp_ieee_div_zero 0
		.amdhsa_exception_fp_ieee_overflow 0
		.amdhsa_exception_fp_ieee_underflow 0
		.amdhsa_exception_fp_ieee_inexact 0
		.amdhsa_exception_int_div_zero 0
	.end_amdhsa_kernel
	.section	.text._ZN8rajaperf9polybench17poly_fdtd2d_1_lamILm256EZNS0_17POLYBENCH_FDTD_2D17runHipVariantImplILm256EEEvNS_9VariantIDEEUllE_EEvlT0_,"axG",@progbits,_ZN8rajaperf9polybench17poly_fdtd2d_1_lamILm256EZNS0_17POLYBENCH_FDTD_2D17runHipVariantImplILm256EEEvNS_9VariantIDEEUllE_EEvlT0_,comdat
.Lfunc_end4:
	.size	_ZN8rajaperf9polybench17poly_fdtd2d_1_lamILm256EZNS0_17POLYBENCH_FDTD_2D17runHipVariantImplILm256EEEvNS_9VariantIDEEUllE_EEvlT0_, .Lfunc_end4-_ZN8rajaperf9polybench17poly_fdtd2d_1_lamILm256EZNS0_17POLYBENCH_FDTD_2D17runHipVariantImplILm256EEEvNS_9VariantIDEEUllE_EEvlT0_
                                        ; -- End function
	.section	.AMDGPU.csdata,"",@progbits
; Kernel info:
; codeLenInByte = 156
; NumSgprs: 18
; NumVgprs: 4
; ScratchSize: 0
; MemoryBound: 0
; FloatMode: 240
; IeeeMode: 1
; LDSByteSize: 0 bytes/workgroup (compile time only)
; SGPRBlocks: 2
; VGPRBlocks: 0
; NumSGPRsForWavesPerEU: 18
; NumVGPRsForWavesPerEU: 4
; Occupancy: 16
; WaveLimiterHint : 0
; COMPUTE_PGM_RSRC2:SCRATCH_EN: 0
; COMPUTE_PGM_RSRC2:USER_SGPR: 15
; COMPUTE_PGM_RSRC2:TRAP_HANDLER: 0
; COMPUTE_PGM_RSRC2:TGID_X_EN: 1
; COMPUTE_PGM_RSRC2:TGID_Y_EN: 0
; COMPUTE_PGM_RSRC2:TGID_Z_EN: 0
; COMPUTE_PGM_RSRC2:TIDIG_COMP_CNT: 0
	.section	.text._ZN8rajaperf9polybench17poly_fdtd2d_2_lamILm32ELm8EZNS0_17POLYBENCH_FDTD_2D17runHipVariantImplILm256EEEvNS_9VariantIDEEUlllE_EEvllT1_,"axG",@progbits,_ZN8rajaperf9polybench17poly_fdtd2d_2_lamILm32ELm8EZNS0_17POLYBENCH_FDTD_2D17runHipVariantImplILm256EEEvNS_9VariantIDEEUlllE_EEvllT1_,comdat
	.protected	_ZN8rajaperf9polybench17poly_fdtd2d_2_lamILm32ELm8EZNS0_17POLYBENCH_FDTD_2D17runHipVariantImplILm256EEEvNS_9VariantIDEEUlllE_EEvllT1_ ; -- Begin function _ZN8rajaperf9polybench17poly_fdtd2d_2_lamILm32ELm8EZNS0_17POLYBENCH_FDTD_2D17runHipVariantImplILm256EEEvNS_9VariantIDEEUlllE_EEvllT1_
	.globl	_ZN8rajaperf9polybench17poly_fdtd2d_2_lamILm32ELm8EZNS0_17POLYBENCH_FDTD_2D17runHipVariantImplILm256EEEvNS_9VariantIDEEUlllE_EEvllT1_
	.p2align	8
	.type	_ZN8rajaperf9polybench17poly_fdtd2d_2_lamILm32ELm8EZNS0_17POLYBENCH_FDTD_2D17runHipVariantImplILm256EEEvNS_9VariantIDEEUlllE_EEvllT1_,@function
_ZN8rajaperf9polybench17poly_fdtd2d_2_lamILm32ELm8EZNS0_17POLYBENCH_FDTD_2D17runHipVariantImplILm256EEEvNS_9VariantIDEEUlllE_EEvllT1_: ; @_ZN8rajaperf9polybench17poly_fdtd2d_2_lamILm32ELm8EZNS0_17POLYBENCH_FDTD_2D17runHipVariantImplILm256EEEvNS_9VariantIDEEUlllE_EEvllT1_
; %bb.0:
	s_load_b128 s[4:7], s[0:1], 0x0
	v_bfe_u32 v1, v0, 10, 10
	s_mov_b32 s2, s15
	s_mov_b32 s3, 0
	v_and_b32_e32 v0, 0x3ff, v0
	s_mov_b32 s15, s3
	s_lshl_b64 s[2:3], s[2:3], 3
	s_lshl_b64 s[8:9], s[14:15], 5
	v_add_co_u32 v2, s2, s2, v1
	s_delay_alu instid0(VALU_DEP_1) | instskip(SKIP_1) | instid1(VALU_DEP_1)
	v_add_co_ci_u32_e64 v3, null, s3, 0, s2
	v_add_co_u32 v0, s2, s8, v0
	v_add_co_ci_u32_e64 v1, null, s9, 0, s2
	s_delay_alu instid0(VALU_DEP_3) | instskip(SKIP_2) | instid1(VALU_DEP_3)
	v_cmp_ne_u64_e64 s3, 0, v[2:3]
	s_waitcnt lgkmcnt(0)
	v_cmp_gt_i64_e32 vcc_lo, s[4:5], v[2:3]
	v_cmp_gt_i64_e64 s2, s[6:7], v[0:1]
	s_delay_alu instid0(VALU_DEP_1)
	s_and_b32 s2, vcc_lo, s2
	s_delay_alu instid0(VALU_DEP_3) | instid1(SALU_CYCLE_1)
	s_and_b32 s2, s2, s3
	s_delay_alu instid0(SALU_CYCLE_1)
	s_and_saveexec_b32 s3, s2
	s_cbranch_execz .LBB5_2
; %bb.1:
	s_clause 0x1
	s_load_b128 s[4:7], s[0:1], 0x10
	s_load_b64 s[0:1], s[0:1], 0x20
	s_waitcnt lgkmcnt(0)
	v_mul_lo_u32 v5, s7, v2
	v_mul_lo_u32 v6, s6, v3
	v_mad_u64_u32 v[3:4], null, s6, v2, 0
	s_delay_alu instid0(VALU_DEP_1) | instskip(NEXT) | instid1(VALU_DEP_2)
	v_add3_u32 v6, v4, v6, v5
	v_sub_co_u32 v4, vcc_lo, v3, s6
	s_delay_alu instid0(VALU_DEP_2) | instskip(SKIP_2) | instid1(VALU_DEP_3)
	v_subrev_co_ci_u32_e32 v5, vcc_lo, s7, v6, vcc_lo
	v_add_co_u32 v2, vcc_lo, v3, v0
	v_add_co_ci_u32_e32 v3, vcc_lo, v6, v1, vcc_lo
	v_lshlrev_b64 v[4:5], 3, v[4:5]
	v_lshlrev_b64 v[0:1], 3, v[0:1]
	s_delay_alu instid0(VALU_DEP_3) | instskip(NEXT) | instid1(VALU_DEP_3)
	v_lshlrev_b64 v[2:3], 3, v[2:3]
	v_add_co_u32 v6, vcc_lo, s0, v4
	s_delay_alu instid0(VALU_DEP_4) | instskip(NEXT) | instid1(VALU_DEP_3)
	v_add_co_ci_u32_e32 v7, vcc_lo, s1, v5, vcc_lo
	v_add_co_u32 v4, vcc_lo, s0, v2
	s_delay_alu instid0(VALU_DEP_4) | instskip(NEXT) | instid1(VALU_DEP_4)
	v_add_co_ci_u32_e32 v5, vcc_lo, s1, v3, vcc_lo
	v_add_co_u32 v0, vcc_lo, v6, v0
	s_delay_alu instid0(VALU_DEP_4)
	v_add_co_ci_u32_e32 v1, vcc_lo, v7, v1, vcc_lo
	s_clause 0x1
	global_load_b64 v[4:5], v[4:5], off
	global_load_b64 v[0:1], v[0:1], off
	v_add_co_u32 v2, vcc_lo, s4, v2
	v_add_co_ci_u32_e32 v3, vcc_lo, s5, v3, vcc_lo
	global_load_b64 v[6:7], v[2:3], off
	s_waitcnt vmcnt(1)
	v_add_f64 v[0:1], v[4:5], -v[0:1]
	s_waitcnt vmcnt(0)
	s_delay_alu instid0(VALU_DEP_1)
	v_fma_f64 v[0:1], v[0:1], -0.5, v[6:7]
	global_store_b64 v[2:3], v[0:1], off
.LBB5_2:
	s_nop 0
	s_sendmsg sendmsg(MSG_DEALLOC_VGPRS)
	s_endpgm
	.section	.rodata,"a",@progbits
	.p2align	6, 0x0
	.amdhsa_kernel _ZN8rajaperf9polybench17poly_fdtd2d_2_lamILm32ELm8EZNS0_17POLYBENCH_FDTD_2D17runHipVariantImplILm256EEEvNS_9VariantIDEEUlllE_EEvllT1_
		.amdhsa_group_segment_fixed_size 0
		.amdhsa_private_segment_fixed_size 0
		.amdhsa_kernarg_size 40
		.amdhsa_user_sgpr_count 14
		.amdhsa_user_sgpr_dispatch_ptr 0
		.amdhsa_user_sgpr_queue_ptr 0
		.amdhsa_user_sgpr_kernarg_segment_ptr 1
		.amdhsa_user_sgpr_dispatch_id 0
		.amdhsa_user_sgpr_private_segment_size 0
		.amdhsa_wavefront_size32 1
		.amdhsa_uses_dynamic_stack 0
		.amdhsa_enable_private_segment 0
		.amdhsa_system_sgpr_workgroup_id_x 1
		.amdhsa_system_sgpr_workgroup_id_y 1
		.amdhsa_system_sgpr_workgroup_id_z 0
		.amdhsa_system_sgpr_workgroup_info 0
		.amdhsa_system_vgpr_workitem_id 1
		.amdhsa_next_free_vgpr 8
		.amdhsa_next_free_sgpr 16
		.amdhsa_reserve_vcc 1
		.amdhsa_float_round_mode_32 0
		.amdhsa_float_round_mode_16_64 0
		.amdhsa_float_denorm_mode_32 3
		.amdhsa_float_denorm_mode_16_64 3
		.amdhsa_dx10_clamp 1
		.amdhsa_ieee_mode 1
		.amdhsa_fp16_overflow 0
		.amdhsa_workgroup_processor_mode 1
		.amdhsa_memory_ordered 1
		.amdhsa_forward_progress 0
		.amdhsa_shared_vgpr_count 0
		.amdhsa_exception_fp_ieee_invalid_op 0
		.amdhsa_exception_fp_denorm_src 0
		.amdhsa_exception_fp_ieee_div_zero 0
		.amdhsa_exception_fp_ieee_overflow 0
		.amdhsa_exception_fp_ieee_underflow 0
		.amdhsa_exception_fp_ieee_inexact 0
		.amdhsa_exception_int_div_zero 0
	.end_amdhsa_kernel
	.section	.text._ZN8rajaperf9polybench17poly_fdtd2d_2_lamILm32ELm8EZNS0_17POLYBENCH_FDTD_2D17runHipVariantImplILm256EEEvNS_9VariantIDEEUlllE_EEvllT1_,"axG",@progbits,_ZN8rajaperf9polybench17poly_fdtd2d_2_lamILm32ELm8EZNS0_17POLYBENCH_FDTD_2D17runHipVariantImplILm256EEEvNS_9VariantIDEEUlllE_EEvllT1_,comdat
.Lfunc_end5:
	.size	_ZN8rajaperf9polybench17poly_fdtd2d_2_lamILm32ELm8EZNS0_17POLYBENCH_FDTD_2D17runHipVariantImplILm256EEEvNS_9VariantIDEEUlllE_EEvllT1_, .Lfunc_end5-_ZN8rajaperf9polybench17poly_fdtd2d_2_lamILm32ELm8EZNS0_17POLYBENCH_FDTD_2D17runHipVariantImplILm256EEEvNS_9VariantIDEEUlllE_EEvllT1_
                                        ; -- End function
	.section	.AMDGPU.csdata,"",@progbits
; Kernel info:
; codeLenInByte = 388
; NumSgprs: 18
; NumVgprs: 8
; ScratchSize: 0
; MemoryBound: 0
; FloatMode: 240
; IeeeMode: 1
; LDSByteSize: 0 bytes/workgroup (compile time only)
; SGPRBlocks: 2
; VGPRBlocks: 0
; NumSGPRsForWavesPerEU: 18
; NumVGPRsForWavesPerEU: 8
; Occupancy: 16
; WaveLimiterHint : 0
; COMPUTE_PGM_RSRC2:SCRATCH_EN: 0
; COMPUTE_PGM_RSRC2:USER_SGPR: 14
; COMPUTE_PGM_RSRC2:TRAP_HANDLER: 0
; COMPUTE_PGM_RSRC2:TGID_X_EN: 1
; COMPUTE_PGM_RSRC2:TGID_Y_EN: 1
; COMPUTE_PGM_RSRC2:TGID_Z_EN: 0
; COMPUTE_PGM_RSRC2:TIDIG_COMP_CNT: 1
	.section	.text._ZN8rajaperf9polybench17poly_fdtd2d_3_lamILm32ELm8EZNS0_17POLYBENCH_FDTD_2D17runHipVariantImplILm256EEEvNS_9VariantIDEEUlllE0_EEvllT1_,"axG",@progbits,_ZN8rajaperf9polybench17poly_fdtd2d_3_lamILm32ELm8EZNS0_17POLYBENCH_FDTD_2D17runHipVariantImplILm256EEEvNS_9VariantIDEEUlllE0_EEvllT1_,comdat
	.protected	_ZN8rajaperf9polybench17poly_fdtd2d_3_lamILm32ELm8EZNS0_17POLYBENCH_FDTD_2D17runHipVariantImplILm256EEEvNS_9VariantIDEEUlllE0_EEvllT1_ ; -- Begin function _ZN8rajaperf9polybench17poly_fdtd2d_3_lamILm32ELm8EZNS0_17POLYBENCH_FDTD_2D17runHipVariantImplILm256EEEvNS_9VariantIDEEUlllE0_EEvllT1_
	.globl	_ZN8rajaperf9polybench17poly_fdtd2d_3_lamILm32ELm8EZNS0_17POLYBENCH_FDTD_2D17runHipVariantImplILm256EEEvNS_9VariantIDEEUlllE0_EEvllT1_
	.p2align	8
	.type	_ZN8rajaperf9polybench17poly_fdtd2d_3_lamILm32ELm8EZNS0_17POLYBENCH_FDTD_2D17runHipVariantImplILm256EEEvNS_9VariantIDEEUlllE0_EEvllT1_,@function
_ZN8rajaperf9polybench17poly_fdtd2d_3_lamILm32ELm8EZNS0_17POLYBENCH_FDTD_2D17runHipVariantImplILm256EEEvNS_9VariantIDEEUlllE0_EEvllT1_: ; @_ZN8rajaperf9polybench17poly_fdtd2d_3_lamILm32ELm8EZNS0_17POLYBENCH_FDTD_2D17runHipVariantImplILm256EEEvNS_9VariantIDEEUlllE0_EEvllT1_
; %bb.0:
	s_load_b128 s[4:7], s[0:1], 0x0
	s_mov_b32 s3, 0
	v_and_b32_e32 v1, 0x3ff, v0
	s_mov_b32 s2, s15
	s_mov_b32 s15, s3
	v_bfe_u32 v2, v0, 10, 10
	s_lshl_b64 s[8:9], s[2:3], 3
	s_lshl_b64 s[2:3], s[14:15], 5
	s_delay_alu instid0(SALU_CYCLE_1) | instskip(NEXT) | instid1(VALU_DEP_1)
	v_add_co_u32 v0, s2, s2, v1
	v_add_co_ci_u32_e64 v1, null, s3, 0, s2
	v_add_co_u32 v2, s2, s8, v2
	s_delay_alu instid0(VALU_DEP_1) | instskip(NEXT) | instid1(VALU_DEP_3)
	v_add_co_ci_u32_e64 v3, null, s9, 0, s2
	v_cmp_ne_u64_e32 vcc_lo, 0, v[0:1]
	s_waitcnt lgkmcnt(0)
	v_cmp_gt_i64_e64 s2, s[6:7], v[0:1]
	s_delay_alu instid0(VALU_DEP_3) | instskip(NEXT) | instid1(VALU_DEP_2)
	v_cmp_gt_i64_e64 s3, s[4:5], v[2:3]
	s_and_b32 s2, vcc_lo, s2
	s_delay_alu instid0(VALU_DEP_1) | instid1(SALU_CYCLE_1)
	s_and_b32 s2, s3, s2
	s_delay_alu instid0(SALU_CYCLE_1)
	s_and_saveexec_b32 s3, s2
	s_cbranch_execz .LBB6_2
; %bb.1:
	s_clause 0x1
	s_load_b128 s[4:7], s[0:1], 0x10
	s_load_b64 s[0:1], s[0:1], 0x20
	s_waitcnt lgkmcnt(0)
	v_mul_lo_u32 v5, s7, v2
	v_mul_lo_u32 v6, s6, v3
	v_mad_u64_u32 v[3:4], null, s6, v2, 0
	s_delay_alu instid0(VALU_DEP_1) | instskip(SKIP_1) | instid1(VALU_DEP_2)
	v_add3_u32 v4, v4, v6, v5
	v_lshlrev_b64 v[5:6], 3, v[0:1]
	v_lshlrev_b64 v[7:8], 3, v[3:4]
	s_delay_alu instid0(VALU_DEP_2) | instskip(NEXT) | instid1(VALU_DEP_3)
	v_add_co_u32 v0, vcc_lo, s0, v5
	v_add_co_ci_u32_e32 v1, vcc_lo, s1, v6, vcc_lo
	s_delay_alu instid0(VALU_DEP_2) | instskip(NEXT) | instid1(VALU_DEP_2)
	v_add_co_u32 v0, vcc_lo, v0, v7
	v_add_co_ci_u32_e32 v1, vcc_lo, v1, v8, vcc_lo
	v_add_co_u32 v4, vcc_lo, s4, v7
	v_add_co_ci_u32_e32 v7, vcc_lo, s5, v8, vcc_lo
	global_load_b128 v[0:3], v[0:1], off offset:-8
	v_add_co_u32 v4, vcc_lo, v4, v5
	v_add_co_ci_u32_e32 v5, vcc_lo, v7, v6, vcc_lo
	global_load_b64 v[6:7], v[4:5], off
	s_waitcnt vmcnt(1)
	v_add_f64 v[0:1], v[2:3], -v[0:1]
	s_waitcnt vmcnt(0)
	s_delay_alu instid0(VALU_DEP_1)
	v_fma_f64 v[0:1], v[0:1], -0.5, v[6:7]
	global_store_b64 v[4:5], v[0:1], off
.LBB6_2:
	s_nop 0
	s_sendmsg sendmsg(MSG_DEALLOC_VGPRS)
	s_endpgm
	.section	.rodata,"a",@progbits
	.p2align	6, 0x0
	.amdhsa_kernel _ZN8rajaperf9polybench17poly_fdtd2d_3_lamILm32ELm8EZNS0_17POLYBENCH_FDTD_2D17runHipVariantImplILm256EEEvNS_9VariantIDEEUlllE0_EEvllT1_
		.amdhsa_group_segment_fixed_size 0
		.amdhsa_private_segment_fixed_size 0
		.amdhsa_kernarg_size 40
		.amdhsa_user_sgpr_count 14
		.amdhsa_user_sgpr_dispatch_ptr 0
		.amdhsa_user_sgpr_queue_ptr 0
		.amdhsa_user_sgpr_kernarg_segment_ptr 1
		.amdhsa_user_sgpr_dispatch_id 0
		.amdhsa_user_sgpr_private_segment_size 0
		.amdhsa_wavefront_size32 1
		.amdhsa_uses_dynamic_stack 0
		.amdhsa_enable_private_segment 0
		.amdhsa_system_sgpr_workgroup_id_x 1
		.amdhsa_system_sgpr_workgroup_id_y 1
		.amdhsa_system_sgpr_workgroup_id_z 0
		.amdhsa_system_sgpr_workgroup_info 0
		.amdhsa_system_vgpr_workitem_id 1
		.amdhsa_next_free_vgpr 9
		.amdhsa_next_free_sgpr 16
		.amdhsa_reserve_vcc 1
		.amdhsa_float_round_mode_32 0
		.amdhsa_float_round_mode_16_64 0
		.amdhsa_float_denorm_mode_32 3
		.amdhsa_float_denorm_mode_16_64 3
		.amdhsa_dx10_clamp 1
		.amdhsa_ieee_mode 1
		.amdhsa_fp16_overflow 0
		.amdhsa_workgroup_processor_mode 1
		.amdhsa_memory_ordered 1
		.amdhsa_forward_progress 0
		.amdhsa_shared_vgpr_count 0
		.amdhsa_exception_fp_ieee_invalid_op 0
		.amdhsa_exception_fp_denorm_src 0
		.amdhsa_exception_fp_ieee_div_zero 0
		.amdhsa_exception_fp_ieee_overflow 0
		.amdhsa_exception_fp_ieee_underflow 0
		.amdhsa_exception_fp_ieee_inexact 0
		.amdhsa_exception_int_div_zero 0
	.end_amdhsa_kernel
	.section	.text._ZN8rajaperf9polybench17poly_fdtd2d_3_lamILm32ELm8EZNS0_17POLYBENCH_FDTD_2D17runHipVariantImplILm256EEEvNS_9VariantIDEEUlllE0_EEvllT1_,"axG",@progbits,_ZN8rajaperf9polybench17poly_fdtd2d_3_lamILm32ELm8EZNS0_17POLYBENCH_FDTD_2D17runHipVariantImplILm256EEEvNS_9VariantIDEEUlllE0_EEvllT1_,comdat
.Lfunc_end6:
	.size	_ZN8rajaperf9polybench17poly_fdtd2d_3_lamILm32ELm8EZNS0_17POLYBENCH_FDTD_2D17runHipVariantImplILm256EEEvNS_9VariantIDEEUlllE0_EEvllT1_, .Lfunc_end6-_ZN8rajaperf9polybench17poly_fdtd2d_3_lamILm32ELm8EZNS0_17POLYBENCH_FDTD_2D17runHipVariantImplILm256EEEvNS_9VariantIDEEUlllE0_EEvllT1_
                                        ; -- End function
	.section	.AMDGPU.csdata,"",@progbits
; Kernel info:
; codeLenInByte = 332
; NumSgprs: 18
; NumVgprs: 9
; ScratchSize: 0
; MemoryBound: 0
; FloatMode: 240
; IeeeMode: 1
; LDSByteSize: 0 bytes/workgroup (compile time only)
; SGPRBlocks: 2
; VGPRBlocks: 1
; NumSGPRsForWavesPerEU: 18
; NumVGPRsForWavesPerEU: 9
; Occupancy: 16
; WaveLimiterHint : 0
; COMPUTE_PGM_RSRC2:SCRATCH_EN: 0
; COMPUTE_PGM_RSRC2:USER_SGPR: 14
; COMPUTE_PGM_RSRC2:TRAP_HANDLER: 0
; COMPUTE_PGM_RSRC2:TGID_X_EN: 1
; COMPUTE_PGM_RSRC2:TGID_Y_EN: 1
; COMPUTE_PGM_RSRC2:TGID_Z_EN: 0
; COMPUTE_PGM_RSRC2:TIDIG_COMP_CNT: 1
	.section	.text._ZN8rajaperf9polybench17poly_fdtd2d_4_lamILm32ELm8EZNS0_17POLYBENCH_FDTD_2D17runHipVariantImplILm256EEEvNS_9VariantIDEEUlllE1_EEvllT1_,"axG",@progbits,_ZN8rajaperf9polybench17poly_fdtd2d_4_lamILm32ELm8EZNS0_17POLYBENCH_FDTD_2D17runHipVariantImplILm256EEEvNS_9VariantIDEEUlllE1_EEvllT1_,comdat
	.protected	_ZN8rajaperf9polybench17poly_fdtd2d_4_lamILm32ELm8EZNS0_17POLYBENCH_FDTD_2D17runHipVariantImplILm256EEEvNS_9VariantIDEEUlllE1_EEvllT1_ ; -- Begin function _ZN8rajaperf9polybench17poly_fdtd2d_4_lamILm32ELm8EZNS0_17POLYBENCH_FDTD_2D17runHipVariantImplILm256EEEvNS_9VariantIDEEUlllE1_EEvllT1_
	.globl	_ZN8rajaperf9polybench17poly_fdtd2d_4_lamILm32ELm8EZNS0_17POLYBENCH_FDTD_2D17runHipVariantImplILm256EEEvNS_9VariantIDEEUlllE1_EEvllT1_
	.p2align	8
	.type	_ZN8rajaperf9polybench17poly_fdtd2d_4_lamILm32ELm8EZNS0_17POLYBENCH_FDTD_2D17runHipVariantImplILm256EEEvNS_9VariantIDEEUlllE1_EEvllT1_,@function
_ZN8rajaperf9polybench17poly_fdtd2d_4_lamILm32ELm8EZNS0_17POLYBENCH_FDTD_2D17runHipVariantImplILm256EEEvNS_9VariantIDEEUlllE1_EEvllT1_: ; @_ZN8rajaperf9polybench17poly_fdtd2d_4_lamILm32ELm8EZNS0_17POLYBENCH_FDTD_2D17runHipVariantImplILm256EEEvNS_9VariantIDEEUlllE1_EEvllT1_
; %bb.0:
	s_load_b128 s[4:7], s[0:1], 0x0
	v_bfe_u32 v1, v0, 10, 10
	s_mov_b32 s2, s15
	s_mov_b32 s3, 0
	v_and_b32_e32 v0, 0x3ff, v0
	s_lshl_b64 s[8:9], s[2:3], 3
	s_mov_b32 s15, s3
	v_add_co_u32 v2, s2, s8, v1
	s_delay_alu instid0(VALU_DEP_1) | instskip(SKIP_1) | instid1(SALU_CYCLE_1)
	v_add_co_ci_u32_e64 v3, null, s9, 0, s2
	s_lshl_b64 s[2:3], s[14:15], 5
	v_add_co_u32 v0, s2, s2, v0
	s_delay_alu instid0(VALU_DEP_1)
	v_add_co_ci_u32_e64 v1, null, s3, 0, s2
	s_waitcnt lgkmcnt(0)
	s_add_u32 s2, s4, -1
	s_addc_u32 s3, s5, -1
	s_add_u32 s4, s6, -1
	s_addc_u32 s5, s7, -1
	v_cmp_gt_i64_e32 vcc_lo, s[2:3], v[2:3]
	v_cmp_gt_i64_e64 s2, s[4:5], v[0:1]
	s_delay_alu instid0(VALU_DEP_1) | instskip(NEXT) | instid1(SALU_CYCLE_1)
	s_and_b32 s2, vcc_lo, s2
	s_and_saveexec_b32 s3, s2
	s_cbranch_execz .LBB7_2
; %bb.1:
	s_load_b256 s[0:7], s[0:1], 0x10
	s_waitcnt lgkmcnt(0)
	v_mad_u64_u32 v[4:5], null, s2, v2, v[0:1]
	v_mul_lo_u32 v11, s2, v3
	v_mul_lo_u32 v12, s3, v2
	v_mad_u64_u32 v[9:10], null, s2, v2, s[2:3]
	v_lshlrev_b64 v[0:1], 3, v[0:1]
	s_delay_alu instid0(VALU_DEP_3) | instskip(NEXT) | instid1(VALU_DEP_3)
	v_add3_u32 v5, v12, v5, v11
	v_add3_u32 v10, v12, v10, v11
	s_delay_alu instid0(VALU_DEP_2) | instskip(NEXT) | instid1(VALU_DEP_2)
	v_lshlrev_b64 v[7:8], 3, v[4:5]
	v_lshlrev_b64 v[9:10], 3, v[9:10]
	s_delay_alu instid0(VALU_DEP_2) | instskip(NEXT) | instid1(VALU_DEP_3)
	v_add_co_u32 v3, vcc_lo, s4, v7
	v_add_co_ci_u32_e32 v4, vcc_lo, s5, v8, vcc_lo
	s_delay_alu instid0(VALU_DEP_3) | instskip(NEXT) | instid1(VALU_DEP_4)
	v_add_co_u32 v2, vcc_lo, s6, v9
	v_add_co_ci_u32_e32 v9, vcc_lo, s7, v10, vcc_lo
	global_load_b128 v[3:6], v[3:4], off
	v_add_co_u32 v0, vcc_lo, v2, v0
	v_add_co_ci_u32_e32 v1, vcc_lo, v9, v1, vcc_lo
	v_add_co_u32 v9, vcc_lo, s6, v7
	v_add_co_ci_u32_e32 v10, vcc_lo, s7, v8, vcc_lo
	global_load_b64 v[0:1], v[0:1], off
	v_add_co_u32 v7, vcc_lo, s0, v7
	global_load_b64 v[9:10], v[9:10], off
	v_add_co_ci_u32_e32 v8, vcc_lo, s1, v8, vcc_lo
	s_mov_b32 s0, 0x66666666
	s_mov_b32 s1, 0xbfe66666
	global_load_b64 v[11:12], v[7:8], off
	s_waitcnt vmcnt(3)
	v_add_f64 v[2:3], v[5:6], -v[3:4]
	s_waitcnt vmcnt(2)
	s_delay_alu instid0(VALU_DEP_1) | instskip(SKIP_1) | instid1(VALU_DEP_1)
	v_add_f64 v[0:1], v[2:3], v[0:1]
	s_waitcnt vmcnt(1)
	v_add_f64 v[0:1], v[0:1], -v[9:10]
	s_waitcnt vmcnt(0)
	s_delay_alu instid0(VALU_DEP_1)
	v_fma_f64 v[0:1], v[0:1], s[0:1], v[11:12]
	global_store_b64 v[7:8], v[0:1], off
.LBB7_2:
	s_nop 0
	s_sendmsg sendmsg(MSG_DEALLOC_VGPRS)
	s_endpgm
	.section	.rodata,"a",@progbits
	.p2align	6, 0x0
	.amdhsa_kernel _ZN8rajaperf9polybench17poly_fdtd2d_4_lamILm32ELm8EZNS0_17POLYBENCH_FDTD_2D17runHipVariantImplILm256EEEvNS_9VariantIDEEUlllE1_EEvllT1_
		.amdhsa_group_segment_fixed_size 0
		.amdhsa_private_segment_fixed_size 0
		.amdhsa_kernarg_size 48
		.amdhsa_user_sgpr_count 14
		.amdhsa_user_sgpr_dispatch_ptr 0
		.amdhsa_user_sgpr_queue_ptr 0
		.amdhsa_user_sgpr_kernarg_segment_ptr 1
		.amdhsa_user_sgpr_dispatch_id 0
		.amdhsa_user_sgpr_private_segment_size 0
		.amdhsa_wavefront_size32 1
		.amdhsa_uses_dynamic_stack 0
		.amdhsa_enable_private_segment 0
		.amdhsa_system_sgpr_workgroup_id_x 1
		.amdhsa_system_sgpr_workgroup_id_y 1
		.amdhsa_system_sgpr_workgroup_id_z 0
		.amdhsa_system_sgpr_workgroup_info 0
		.amdhsa_system_vgpr_workitem_id 1
		.amdhsa_next_free_vgpr 13
		.amdhsa_next_free_sgpr 16
		.amdhsa_reserve_vcc 1
		.amdhsa_float_round_mode_32 0
		.amdhsa_float_round_mode_16_64 0
		.amdhsa_float_denorm_mode_32 3
		.amdhsa_float_denorm_mode_16_64 3
		.amdhsa_dx10_clamp 1
		.amdhsa_ieee_mode 1
		.amdhsa_fp16_overflow 0
		.amdhsa_workgroup_processor_mode 1
		.amdhsa_memory_ordered 1
		.amdhsa_forward_progress 0
		.amdhsa_shared_vgpr_count 0
		.amdhsa_exception_fp_ieee_invalid_op 0
		.amdhsa_exception_fp_denorm_src 0
		.amdhsa_exception_fp_ieee_div_zero 0
		.amdhsa_exception_fp_ieee_overflow 0
		.amdhsa_exception_fp_ieee_underflow 0
		.amdhsa_exception_fp_ieee_inexact 0
		.amdhsa_exception_int_div_zero 0
	.end_amdhsa_kernel
	.section	.text._ZN8rajaperf9polybench17poly_fdtd2d_4_lamILm32ELm8EZNS0_17POLYBENCH_FDTD_2D17runHipVariantImplILm256EEEvNS_9VariantIDEEUlllE1_EEvllT1_,"axG",@progbits,_ZN8rajaperf9polybench17poly_fdtd2d_4_lamILm32ELm8EZNS0_17POLYBENCH_FDTD_2D17runHipVariantImplILm256EEEvNS_9VariantIDEEUlllE1_EEvllT1_,comdat
.Lfunc_end7:
	.size	_ZN8rajaperf9polybench17poly_fdtd2d_4_lamILm32ELm8EZNS0_17POLYBENCH_FDTD_2D17runHipVariantImplILm256EEEvNS_9VariantIDEEUlllE1_EEvllT1_, .Lfunc_end7-_ZN8rajaperf9polybench17poly_fdtd2d_4_lamILm32ELm8EZNS0_17POLYBENCH_FDTD_2D17runHipVariantImplILm256EEEvNS_9VariantIDEEUlllE1_EEvllT1_
                                        ; -- End function
	.section	.AMDGPU.csdata,"",@progbits
; Kernel info:
; codeLenInByte = 416
; NumSgprs: 18
; NumVgprs: 13
; ScratchSize: 0
; MemoryBound: 0
; FloatMode: 240
; IeeeMode: 1
; LDSByteSize: 0 bytes/workgroup (compile time only)
; SGPRBlocks: 2
; VGPRBlocks: 1
; NumSGPRsForWavesPerEU: 18
; NumVGPRsForWavesPerEU: 13
; Occupancy: 16
; WaveLimiterHint : 0
; COMPUTE_PGM_RSRC2:SCRATCH_EN: 0
; COMPUTE_PGM_RSRC2:USER_SGPR: 14
; COMPUTE_PGM_RSRC2:TRAP_HANDLER: 0
; COMPUTE_PGM_RSRC2:TGID_X_EN: 1
; COMPUTE_PGM_RSRC2:TGID_Y_EN: 1
; COMPUTE_PGM_RSRC2:TGID_Z_EN: 0
; COMPUTE_PGM_RSRC2:TIDIG_COMP_CNT: 1
	.section	.text._ZN4RAJA6policy3hip4impl18forallp_hip_kernelINS1_8hip_execINS_17iteration_mapping6DirectENS_3hip11IndexGlobalILNS_9named_dimE0ELi256ELi0EEENS7_40AvoidDeviceMaxThreadOccupancyConcretizerINS7_34FractionOffsetOccupancyConcretizerINS_8FractionImLm1ELm1EEELln1EEEEELb1EEENS_9Iterators16numeric_iteratorIllPlEEZN8rajaperf9polybench17POLYBENCH_FDTD_2D17runHipVariantImplILm256EEEvNSM_9VariantIDEEUllE0_lNS_4expt15ForallParamPackIJEEES6_SA_TnNSt9enable_ifIXaasr3std10is_base_ofINS5_10DirectBaseET4_EE5valuegtsrT5_10block_sizeLi0EEmE4typeELm256EEEvT1_T0_T2_T3_,"axG",@progbits,_ZN4RAJA6policy3hip4impl18forallp_hip_kernelINS1_8hip_execINS_17iteration_mapping6DirectENS_3hip11IndexGlobalILNS_9named_dimE0ELi256ELi0EEENS7_40AvoidDeviceMaxThreadOccupancyConcretizerINS7_34FractionOffsetOccupancyConcretizerINS_8FractionImLm1ELm1EEELln1EEEEELb1EEENS_9Iterators16numeric_iteratorIllPlEEZN8rajaperf9polybench17POLYBENCH_FDTD_2D17runHipVariantImplILm256EEEvNSM_9VariantIDEEUllE0_lNS_4expt15ForallParamPackIJEEES6_SA_TnNSt9enable_ifIXaasr3std10is_base_ofINS5_10DirectBaseET4_EE5valuegtsrT5_10block_sizeLi0EEmE4typeELm256EEEvT1_T0_T2_T3_,comdat
	.protected	_ZN4RAJA6policy3hip4impl18forallp_hip_kernelINS1_8hip_execINS_17iteration_mapping6DirectENS_3hip11IndexGlobalILNS_9named_dimE0ELi256ELi0EEENS7_40AvoidDeviceMaxThreadOccupancyConcretizerINS7_34FractionOffsetOccupancyConcretizerINS_8FractionImLm1ELm1EEELln1EEEEELb1EEENS_9Iterators16numeric_iteratorIllPlEEZN8rajaperf9polybench17POLYBENCH_FDTD_2D17runHipVariantImplILm256EEEvNSM_9VariantIDEEUllE0_lNS_4expt15ForallParamPackIJEEES6_SA_TnNSt9enable_ifIXaasr3std10is_base_ofINS5_10DirectBaseET4_EE5valuegtsrT5_10block_sizeLi0EEmE4typeELm256EEEvT1_T0_T2_T3_ ; -- Begin function _ZN4RAJA6policy3hip4impl18forallp_hip_kernelINS1_8hip_execINS_17iteration_mapping6DirectENS_3hip11IndexGlobalILNS_9named_dimE0ELi256ELi0EEENS7_40AvoidDeviceMaxThreadOccupancyConcretizerINS7_34FractionOffsetOccupancyConcretizerINS_8FractionImLm1ELm1EEELln1EEEEELb1EEENS_9Iterators16numeric_iteratorIllPlEEZN8rajaperf9polybench17POLYBENCH_FDTD_2D17runHipVariantImplILm256EEEvNSM_9VariantIDEEUllE0_lNS_4expt15ForallParamPackIJEEES6_SA_TnNSt9enable_ifIXaasr3std10is_base_ofINS5_10DirectBaseET4_EE5valuegtsrT5_10block_sizeLi0EEmE4typeELm256EEEvT1_T0_T2_T3_
	.globl	_ZN4RAJA6policy3hip4impl18forallp_hip_kernelINS1_8hip_execINS_17iteration_mapping6DirectENS_3hip11IndexGlobalILNS_9named_dimE0ELi256ELi0EEENS7_40AvoidDeviceMaxThreadOccupancyConcretizerINS7_34FractionOffsetOccupancyConcretizerINS_8FractionImLm1ELm1EEELln1EEEEELb1EEENS_9Iterators16numeric_iteratorIllPlEEZN8rajaperf9polybench17POLYBENCH_FDTD_2D17runHipVariantImplILm256EEEvNSM_9VariantIDEEUllE0_lNS_4expt15ForallParamPackIJEEES6_SA_TnNSt9enable_ifIXaasr3std10is_base_ofINS5_10DirectBaseET4_EE5valuegtsrT5_10block_sizeLi0EEmE4typeELm256EEEvT1_T0_T2_T3_
	.p2align	8
	.type	_ZN4RAJA6policy3hip4impl18forallp_hip_kernelINS1_8hip_execINS_17iteration_mapping6DirectENS_3hip11IndexGlobalILNS_9named_dimE0ELi256ELi0EEENS7_40AvoidDeviceMaxThreadOccupancyConcretizerINS7_34FractionOffsetOccupancyConcretizerINS_8FractionImLm1ELm1EEELln1EEEEELb1EEENS_9Iterators16numeric_iteratorIllPlEEZN8rajaperf9polybench17POLYBENCH_FDTD_2D17runHipVariantImplILm256EEEvNSM_9VariantIDEEUllE0_lNS_4expt15ForallParamPackIJEEES6_SA_TnNSt9enable_ifIXaasr3std10is_base_ofINS5_10DirectBaseET4_EE5valuegtsrT5_10block_sizeLi0EEmE4typeELm256EEEvT1_T0_T2_T3_,@function
_ZN4RAJA6policy3hip4impl18forallp_hip_kernelINS1_8hip_execINS_17iteration_mapping6DirectENS_3hip11IndexGlobalILNS_9named_dimE0ELi256ELi0EEENS7_40AvoidDeviceMaxThreadOccupancyConcretizerINS7_34FractionOffsetOccupancyConcretizerINS_8FractionImLm1ELm1EEELln1EEEEELb1EEENS_9Iterators16numeric_iteratorIllPlEEZN8rajaperf9polybench17POLYBENCH_FDTD_2D17runHipVariantImplILm256EEEvNSM_9VariantIDEEUllE0_lNS_4expt15ForallParamPackIJEEES6_SA_TnNSt9enable_ifIXaasr3std10is_base_ofINS5_10DirectBaseET4_EE5valuegtsrT5_10block_sizeLi0EEmE4typeELm256EEEvT1_T0_T2_T3_: ; @_ZN4RAJA6policy3hip4impl18forallp_hip_kernelINS1_8hip_execINS_17iteration_mapping6DirectENS_3hip11IndexGlobalILNS_9named_dimE0ELi256ELi0EEENS7_40AvoidDeviceMaxThreadOccupancyConcretizerINS7_34FractionOffsetOccupancyConcretizerINS_8FractionImLm1ELm1EEELln1EEEEELb1EEENS_9Iterators16numeric_iteratorIllPlEEZN8rajaperf9polybench17POLYBENCH_FDTD_2D17runHipVariantImplILm256EEEvNSM_9VariantIDEEUllE0_lNS_4expt15ForallParamPackIJEEES6_SA_TnNSt9enable_ifIXaasr3std10is_base_ofINS5_10DirectBaseET4_EE5valuegtsrT5_10block_sizeLi0EEmE4typeELm256EEEvT1_T0_T2_T3_
; %bb.0:
	s_load_b128 s[4:7], s[0:1], 0x58
	s_mov_b32 s2, s15
	s_mov_b32 s3, 0
	s_delay_alu instid0(SALU_CYCLE_1) | instskip(NEXT) | instid1(SALU_CYCLE_1)
	s_lshl_b64 s[2:3], s[2:3], 8
	v_or_b32_e32 v0, s2, v0
	v_mov_b32_e32 v1, s3
	s_mov_b32 s2, exec_lo
	s_waitcnt lgkmcnt(0)
	s_delay_alu instid0(VALU_DEP_1)
	v_cmpx_gt_i64_e64 s[6:7], v[0:1]
	s_cbranch_execz .LBB8_2
; %bb.1:
	s_clause 0x1
	s_load_b64 s[6:7], s[0:1], 0x0
	s_load_b128 s[0:3], s[0:1], 0x48
	s_lshl_b64 s[4:5], s[4:5], 3
	v_lshlrev_b64 v[0:1], 3, v[0:1]
	s_waitcnt lgkmcnt(0)
	s_add_u32 s4, s4, s6
	s_addc_u32 s5, s5, s7
	s_lshl_b64 s[2:3], s[2:3], 3
	s_delay_alu instid0(VALU_DEP_1)
	v_add_co_u32 v0, vcc_lo, s4, v0
	s_add_u32 s0, s0, s2
	s_addc_u32 s1, s1, s3
	v_add_co_ci_u32_e32 v1, vcc_lo, s5, v1, vcc_lo
	s_load_b64 s[0:1], s[0:1], 0x0
	s_waitcnt lgkmcnt(0)
	v_dual_mov_b32 v3, s1 :: v_dual_mov_b32 v2, s0
	global_store_b64 v[0:1], v[2:3], off
.LBB8_2:
	s_nop 0
	s_sendmsg sendmsg(MSG_DEALLOC_VGPRS)
	s_endpgm
	.section	.rodata,"a",@progbits
	.p2align	6, 0x0
	.amdhsa_kernel _ZN4RAJA6policy3hip4impl18forallp_hip_kernelINS1_8hip_execINS_17iteration_mapping6DirectENS_3hip11IndexGlobalILNS_9named_dimE0ELi256ELi0EEENS7_40AvoidDeviceMaxThreadOccupancyConcretizerINS7_34FractionOffsetOccupancyConcretizerINS_8FractionImLm1ELm1EEELln1EEEEELb1EEENS_9Iterators16numeric_iteratorIllPlEEZN8rajaperf9polybench17POLYBENCH_FDTD_2D17runHipVariantImplILm256EEEvNSM_9VariantIDEEUllE0_lNS_4expt15ForallParamPackIJEEES6_SA_TnNSt9enable_ifIXaasr3std10is_base_ofINS5_10DirectBaseET4_EE5valuegtsrT5_10block_sizeLi0EEmE4typeELm256EEEvT1_T0_T2_T3_
		.amdhsa_group_segment_fixed_size 0
		.amdhsa_private_segment_fixed_size 0
		.amdhsa_kernarg_size 108
		.amdhsa_user_sgpr_count 15
		.amdhsa_user_sgpr_dispatch_ptr 0
		.amdhsa_user_sgpr_queue_ptr 0
		.amdhsa_user_sgpr_kernarg_segment_ptr 1
		.amdhsa_user_sgpr_dispatch_id 0
		.amdhsa_user_sgpr_private_segment_size 0
		.amdhsa_wavefront_size32 1
		.amdhsa_uses_dynamic_stack 0
		.amdhsa_enable_private_segment 0
		.amdhsa_system_sgpr_workgroup_id_x 1
		.amdhsa_system_sgpr_workgroup_id_y 0
		.amdhsa_system_sgpr_workgroup_id_z 0
		.amdhsa_system_sgpr_workgroup_info 0
		.amdhsa_system_vgpr_workitem_id 0
		.amdhsa_next_free_vgpr 4
		.amdhsa_next_free_sgpr 16
		.amdhsa_reserve_vcc 1
		.amdhsa_float_round_mode_32 0
		.amdhsa_float_round_mode_16_64 0
		.amdhsa_float_denorm_mode_32 3
		.amdhsa_float_denorm_mode_16_64 3
		.amdhsa_dx10_clamp 1
		.amdhsa_ieee_mode 1
		.amdhsa_fp16_overflow 0
		.amdhsa_workgroup_processor_mode 1
		.amdhsa_memory_ordered 1
		.amdhsa_forward_progress 0
		.amdhsa_shared_vgpr_count 0
		.amdhsa_exception_fp_ieee_invalid_op 0
		.amdhsa_exception_fp_denorm_src 0
		.amdhsa_exception_fp_ieee_div_zero 0
		.amdhsa_exception_fp_ieee_overflow 0
		.amdhsa_exception_fp_ieee_underflow 0
		.amdhsa_exception_fp_ieee_inexact 0
		.amdhsa_exception_int_div_zero 0
	.end_amdhsa_kernel
	.section	.text._ZN4RAJA6policy3hip4impl18forallp_hip_kernelINS1_8hip_execINS_17iteration_mapping6DirectENS_3hip11IndexGlobalILNS_9named_dimE0ELi256ELi0EEENS7_40AvoidDeviceMaxThreadOccupancyConcretizerINS7_34FractionOffsetOccupancyConcretizerINS_8FractionImLm1ELm1EEELln1EEEEELb1EEENS_9Iterators16numeric_iteratorIllPlEEZN8rajaperf9polybench17POLYBENCH_FDTD_2D17runHipVariantImplILm256EEEvNSM_9VariantIDEEUllE0_lNS_4expt15ForallParamPackIJEEES6_SA_TnNSt9enable_ifIXaasr3std10is_base_ofINS5_10DirectBaseET4_EE5valuegtsrT5_10block_sizeLi0EEmE4typeELm256EEEvT1_T0_T2_T3_,"axG",@progbits,_ZN4RAJA6policy3hip4impl18forallp_hip_kernelINS1_8hip_execINS_17iteration_mapping6DirectENS_3hip11IndexGlobalILNS_9named_dimE0ELi256ELi0EEENS7_40AvoidDeviceMaxThreadOccupancyConcretizerINS7_34FractionOffsetOccupancyConcretizerINS_8FractionImLm1ELm1EEELln1EEEEELb1EEENS_9Iterators16numeric_iteratorIllPlEEZN8rajaperf9polybench17POLYBENCH_FDTD_2D17runHipVariantImplILm256EEEvNSM_9VariantIDEEUllE0_lNS_4expt15ForallParamPackIJEEES6_SA_TnNSt9enable_ifIXaasr3std10is_base_ofINS5_10DirectBaseET4_EE5valuegtsrT5_10block_sizeLi0EEmE4typeELm256EEEvT1_T0_T2_T3_,comdat
.Lfunc_end8:
	.size	_ZN4RAJA6policy3hip4impl18forallp_hip_kernelINS1_8hip_execINS_17iteration_mapping6DirectENS_3hip11IndexGlobalILNS_9named_dimE0ELi256ELi0EEENS7_40AvoidDeviceMaxThreadOccupancyConcretizerINS7_34FractionOffsetOccupancyConcretizerINS_8FractionImLm1ELm1EEELln1EEEEELb1EEENS_9Iterators16numeric_iteratorIllPlEEZN8rajaperf9polybench17POLYBENCH_FDTD_2D17runHipVariantImplILm256EEEvNSM_9VariantIDEEUllE0_lNS_4expt15ForallParamPackIJEEES6_SA_TnNSt9enable_ifIXaasr3std10is_base_ofINS5_10DirectBaseET4_EE5valuegtsrT5_10block_sizeLi0EEmE4typeELm256EEEvT1_T0_T2_T3_, .Lfunc_end8-_ZN4RAJA6policy3hip4impl18forallp_hip_kernelINS1_8hip_execINS_17iteration_mapping6DirectENS_3hip11IndexGlobalILNS_9named_dimE0ELi256ELi0EEENS7_40AvoidDeviceMaxThreadOccupancyConcretizerINS7_34FractionOffsetOccupancyConcretizerINS_8FractionImLm1ELm1EEELln1EEEEELb1EEENS_9Iterators16numeric_iteratorIllPlEEZN8rajaperf9polybench17POLYBENCH_FDTD_2D17runHipVariantImplILm256EEEvNSM_9VariantIDEEUllE0_lNS_4expt15ForallParamPackIJEEES6_SA_TnNSt9enable_ifIXaasr3std10is_base_ofINS5_10DirectBaseET4_EE5valuegtsrT5_10block_sizeLi0EEmE4typeELm256EEEvT1_T0_T2_T3_
                                        ; -- End function
	.section	.AMDGPU.csdata,"",@progbits
; Kernel info:
; codeLenInByte = 168
; NumSgprs: 18
; NumVgprs: 4
; ScratchSize: 0
; MemoryBound: 0
; FloatMode: 240
; IeeeMode: 1
; LDSByteSize: 0 bytes/workgroup (compile time only)
; SGPRBlocks: 2
; VGPRBlocks: 0
; NumSGPRsForWavesPerEU: 18
; NumVGPRsForWavesPerEU: 4
; Occupancy: 16
; WaveLimiterHint : 1
; COMPUTE_PGM_RSRC2:SCRATCH_EN: 0
; COMPUTE_PGM_RSRC2:USER_SGPR: 15
; COMPUTE_PGM_RSRC2:TRAP_HANDLER: 0
; COMPUTE_PGM_RSRC2:TGID_X_EN: 1
; COMPUTE_PGM_RSRC2:TGID_Y_EN: 0
; COMPUTE_PGM_RSRC2:TGID_Z_EN: 0
; COMPUTE_PGM_RSRC2:TIDIG_COMP_CNT: 0
	.section	.text._ZN4RAJA8internal22HipKernelLauncherFixedILi256ENS0_8LoopDataIN4camp5tupleIJNS_4SpanINS_9Iterators16numeric_iteratorIllPlEElEESA_EEENS4_IJEEENS3_9resources2v13HipEJZN8rajaperf9polybench17POLYBENCH_FDTD_2D17runHipVariantImplILm256EEEvNSG_9VariantIDEEUlllE2_EEENS0_24HipStatementListExecutorISM_NS3_4listIJNS_9statement3ForILl0ENS_6policy3hip11hip_indexerINS_17iteration_mapping6DirectELNS_23kernel_sync_requirementE0EJNS_3hip11IndexGlobalILNS_9named_dimE1ELi8ELi0EEEEEEJNSQ_ILl1ENST_ISV_LSW_0EJNSY_ILSZ_0ELi32ELi0EEEEEEJNSP_6LambdaILl0EJEEEEEEEEEEEENS0_9LoopTypesINSO_IJvvEEES1A_EEEEEEvT0_,"axG",@progbits,_ZN4RAJA8internal22HipKernelLauncherFixedILi256ENS0_8LoopDataIN4camp5tupleIJNS_4SpanINS_9Iterators16numeric_iteratorIllPlEElEESA_EEENS4_IJEEENS3_9resources2v13HipEJZN8rajaperf9polybench17POLYBENCH_FDTD_2D17runHipVariantImplILm256EEEvNSG_9VariantIDEEUlllE2_EEENS0_24HipStatementListExecutorISM_NS3_4listIJNS_9statement3ForILl0ENS_6policy3hip11hip_indexerINS_17iteration_mapping6DirectELNS_23kernel_sync_requirementE0EJNS_3hip11IndexGlobalILNS_9named_dimE1ELi8ELi0EEEEEEJNSQ_ILl1ENST_ISV_LSW_0EJNSY_ILSZ_0ELi32ELi0EEEEEEJNSP_6LambdaILl0EJEEEEEEEEEEEENS0_9LoopTypesINSO_IJvvEEES1A_EEEEEEvT0_,comdat
	.protected	_ZN4RAJA8internal22HipKernelLauncherFixedILi256ENS0_8LoopDataIN4camp5tupleIJNS_4SpanINS_9Iterators16numeric_iteratorIllPlEElEESA_EEENS4_IJEEENS3_9resources2v13HipEJZN8rajaperf9polybench17POLYBENCH_FDTD_2D17runHipVariantImplILm256EEEvNSG_9VariantIDEEUlllE2_EEENS0_24HipStatementListExecutorISM_NS3_4listIJNS_9statement3ForILl0ENS_6policy3hip11hip_indexerINS_17iteration_mapping6DirectELNS_23kernel_sync_requirementE0EJNS_3hip11IndexGlobalILNS_9named_dimE1ELi8ELi0EEEEEEJNSQ_ILl1ENST_ISV_LSW_0EJNSY_ILSZ_0ELi32ELi0EEEEEEJNSP_6LambdaILl0EJEEEEEEEEEEEENS0_9LoopTypesINSO_IJvvEEES1A_EEEEEEvT0_ ; -- Begin function _ZN4RAJA8internal22HipKernelLauncherFixedILi256ENS0_8LoopDataIN4camp5tupleIJNS_4SpanINS_9Iterators16numeric_iteratorIllPlEElEESA_EEENS4_IJEEENS3_9resources2v13HipEJZN8rajaperf9polybench17POLYBENCH_FDTD_2D17runHipVariantImplILm256EEEvNSG_9VariantIDEEUlllE2_EEENS0_24HipStatementListExecutorISM_NS3_4listIJNS_9statement3ForILl0ENS_6policy3hip11hip_indexerINS_17iteration_mapping6DirectELNS_23kernel_sync_requirementE0EJNS_3hip11IndexGlobalILNS_9named_dimE1ELi8ELi0EEEEEEJNSQ_ILl1ENST_ISV_LSW_0EJNSY_ILSZ_0ELi32ELi0EEEEEEJNSP_6LambdaILl0EJEEEEEEEEEEEENS0_9LoopTypesINSO_IJvvEEES1A_EEEEEEvT0_
	.globl	_ZN4RAJA8internal22HipKernelLauncherFixedILi256ENS0_8LoopDataIN4camp5tupleIJNS_4SpanINS_9Iterators16numeric_iteratorIllPlEElEESA_EEENS4_IJEEENS3_9resources2v13HipEJZN8rajaperf9polybench17POLYBENCH_FDTD_2D17runHipVariantImplILm256EEEvNSG_9VariantIDEEUlllE2_EEENS0_24HipStatementListExecutorISM_NS3_4listIJNS_9statement3ForILl0ENS_6policy3hip11hip_indexerINS_17iteration_mapping6DirectELNS_23kernel_sync_requirementE0EJNS_3hip11IndexGlobalILNS_9named_dimE1ELi8ELi0EEEEEEJNSQ_ILl1ENST_ISV_LSW_0EJNSY_ILSZ_0ELi32ELi0EEEEEEJNSP_6LambdaILl0EJEEEEEEEEEEEENS0_9LoopTypesINSO_IJvvEEES1A_EEEEEEvT0_
	.p2align	8
	.type	_ZN4RAJA8internal22HipKernelLauncherFixedILi256ENS0_8LoopDataIN4camp5tupleIJNS_4SpanINS_9Iterators16numeric_iteratorIllPlEElEESA_EEENS4_IJEEENS3_9resources2v13HipEJZN8rajaperf9polybench17POLYBENCH_FDTD_2D17runHipVariantImplILm256EEEvNSG_9VariantIDEEUlllE2_EEENS0_24HipStatementListExecutorISM_NS3_4listIJNS_9statement3ForILl0ENS_6policy3hip11hip_indexerINS_17iteration_mapping6DirectELNS_23kernel_sync_requirementE0EJNS_3hip11IndexGlobalILNS_9named_dimE1ELi8ELi0EEEEEEJNSQ_ILl1ENST_ISV_LSW_0EJNSY_ILSZ_0ELi32ELi0EEEEEEJNSP_6LambdaILl0EJEEEEEEEEEEEENS0_9LoopTypesINSO_IJvvEEES1A_EEEEEEvT0_,@function
_ZN4RAJA8internal22HipKernelLauncherFixedILi256ENS0_8LoopDataIN4camp5tupleIJNS_4SpanINS_9Iterators16numeric_iteratorIllPlEElEESA_EEENS4_IJEEENS3_9resources2v13HipEJZN8rajaperf9polybench17POLYBENCH_FDTD_2D17runHipVariantImplILm256EEEvNSG_9VariantIDEEUlllE2_EEENS0_24HipStatementListExecutorISM_NS3_4listIJNS_9statement3ForILl0ENS_6policy3hip11hip_indexerINS_17iteration_mapping6DirectELNS_23kernel_sync_requirementE0EJNS_3hip11IndexGlobalILNS_9named_dimE1ELi8ELi0EEEEEEJNSQ_ILl1ENST_ISV_LSW_0EJNSY_ILSZ_0ELi32ELi0EEEEEEJNSP_6LambdaILl0EJEEEEEEEEEEEENS0_9LoopTypesINSO_IJvvEEES1A_EEEEEEvT0_: ; @_ZN4RAJA8internal22HipKernelLauncherFixedILi256ENS0_8LoopDataIN4camp5tupleIJNS_4SpanINS_9Iterators16numeric_iteratorIllPlEElEESA_EEENS4_IJEEENS3_9resources2v13HipEJZN8rajaperf9polybench17POLYBENCH_FDTD_2D17runHipVariantImplILm256EEEvNSG_9VariantIDEEUlllE2_EEENS0_24HipStatementListExecutorISM_NS3_4listIJNS_9statement3ForILl0ENS_6policy3hip11hip_indexerINS_17iteration_mapping6DirectELNS_23kernel_sync_requirementE0EJNS_3hip11IndexGlobalILNS_9named_dimE1ELi8ELi0EEEEEEJNSQ_ILl1ENST_ISV_LSW_0EJNSY_ILSZ_0ELi32ELi0EEEEEEJNSP_6LambdaILl0EJEEEEEEEEEEEENS0_9LoopTypesINSO_IJvvEEES1A_EEEEEEvT0_
; %bb.0:
	s_load_b256 s[4:11], s[0:1], 0x0
	v_bfe_u32 v1, v0, 10, 10
	s_mov_b32 s2, s15
	s_mov_b32 s3, 0
	v_and_b32_e32 v0, 0x3ff, v0
	s_mov_b32 s15, s3
	s_waitcnt lgkmcnt(0)
	s_sub_u32 s6, s6, s4
	s_subb_u32 s7, s7, s5
	s_lshl_b64 s[2:3], s[2:3], 3
	s_sub_u32 s10, s10, s8
	v_add_co_u32 v2, s2, s2, v1
	s_delay_alu instid0(VALU_DEP_1) | instskip(SKIP_2) | instid1(SALU_CYCLE_1)
	v_add_co_ci_u32_e64 v3, null, s3, 0, s2
	s_subb_u32 s11, s11, s9
	s_lshl_b64 s[2:3], s[14:15], 5
	v_add_co_u32 v0, s2, s2, v0
	s_delay_alu instid0(VALU_DEP_1) | instskip(SKIP_1) | instid1(VALU_DEP_2)
	v_add_co_ci_u32_e64 v1, null, s3, 0, s2
	v_cmp_gt_i64_e32 vcc_lo, s[6:7], v[2:3]
	v_cmp_gt_i64_e64 s2, s[10:11], v[0:1]
	s_delay_alu instid0(VALU_DEP_1) | instskip(NEXT) | instid1(SALU_CYCLE_1)
	s_and_b32 s2, vcc_lo, s2
	s_and_saveexec_b32 s3, s2
	s_cbranch_execz .LBB9_2
; %bb.1:
	s_load_b64 s[2:3], s[0:1], 0x98
	v_add_co_u32 v8, vcc_lo, s4, v2
	v_add_co_ci_u32_e32 v6, vcc_lo, s5, v3, vcc_lo
	s_load_b64 s[4:5], s[0:1], 0x80
	v_add_co_u32 v0, vcc_lo, s8, v0
	v_add_co_ci_u32_e32 v1, vcc_lo, s9, v1, vcc_lo
	s_delay_alu instid0(VALU_DEP_1) | instskip(SKIP_4) | instid1(VALU_DEP_1)
	v_lshlrev_b64 v[0:1], 3, v[0:1]
	s_waitcnt lgkmcnt(0)
	v_mul_lo_u32 v4, s3, v8
	v_mul_lo_u32 v5, s2, v6
	v_mad_u64_u32 v[2:3], null, s2, v8, 0
	v_add3_u32 v3, v3, v5, v4
	s_delay_alu instid0(VALU_DEP_2) | instskip(NEXT) | instid1(VALU_DEP_2)
	v_sub_co_u32 v4, vcc_lo, v2, s2
	v_subrev_co_ci_u32_e32 v5, vcc_lo, s3, v3, vcc_lo
	s_load_b64 s[2:3], s[0:1], 0x50
	v_lshlrev_b64 v[2:3], 3, v[2:3]
	s_load_b64 s[0:1], s[0:1], 0x38
	s_delay_alu instid0(VALU_DEP_2) | instskip(NEXT) | instid1(VALU_DEP_2)
	v_lshlrev_b64 v[4:5], 3, v[4:5]
	v_add_co_u32 v2, vcc_lo, s4, v2
	s_delay_alu instid0(VALU_DEP_3) | instskip(NEXT) | instid1(VALU_DEP_3)
	v_add_co_ci_u32_e32 v3, vcc_lo, s5, v3, vcc_lo
	v_add_co_u32 v4, vcc_lo, s4, v4
	s_delay_alu instid0(VALU_DEP_4) | instskip(NEXT) | instid1(VALU_DEP_4)
	v_add_co_ci_u32_e32 v5, vcc_lo, s5, v5, vcc_lo
	v_add_co_u32 v2, vcc_lo, v2, v0
	s_delay_alu instid0(VALU_DEP_4) | instskip(NEXT) | instid1(VALU_DEP_4)
	v_add_co_ci_u32_e32 v3, vcc_lo, v3, v1, vcc_lo
	v_add_co_u32 v4, vcc_lo, v4, v0
	s_delay_alu instid0(VALU_DEP_4)
	v_add_co_ci_u32_e32 v5, vcc_lo, v5, v1, vcc_lo
	s_clause 0x1
	global_load_b64 v[2:3], v[2:3], off
	global_load_b64 v[4:5], v[4:5], off
	s_waitcnt lgkmcnt(0)
	v_mul_lo_u32 v9, s3, v8
	v_mul_lo_u32 v10, s2, v6
	v_mad_u64_u32 v[6:7], null, s2, v8, 0
	s_delay_alu instid0(VALU_DEP_1) | instskip(NEXT) | instid1(VALU_DEP_1)
	v_add3_u32 v7, v7, v10, v9
	v_lshlrev_b64 v[6:7], 3, v[6:7]
	s_delay_alu instid0(VALU_DEP_1) | instskip(NEXT) | instid1(VALU_DEP_2)
	v_add_co_u32 v6, vcc_lo, s0, v6
	v_add_co_ci_u32_e32 v7, vcc_lo, s1, v7, vcc_lo
	s_delay_alu instid0(VALU_DEP_2) | instskip(NEXT) | instid1(VALU_DEP_2)
	v_add_co_u32 v0, vcc_lo, v6, v0
	v_add_co_ci_u32_e32 v1, vcc_lo, v7, v1, vcc_lo
	global_load_b64 v[6:7], v[0:1], off
	s_waitcnt vmcnt(1)
	v_add_f64 v[2:3], v[2:3], -v[4:5]
	s_waitcnt vmcnt(0)
	s_delay_alu instid0(VALU_DEP_1)
	v_fma_f64 v[2:3], v[2:3], -0.5, v[6:7]
	global_store_b64 v[0:1], v[2:3], off
.LBB9_2:
	s_nop 0
	s_sendmsg sendmsg(MSG_DEALLOC_VGPRS)
	s_endpgm
	.section	.rodata,"a",@progbits
	.p2align	6, 0x0
	.amdhsa_kernel _ZN4RAJA8internal22HipKernelLauncherFixedILi256ENS0_8LoopDataIN4camp5tupleIJNS_4SpanINS_9Iterators16numeric_iteratorIllPlEElEESA_EEENS4_IJEEENS3_9resources2v13HipEJZN8rajaperf9polybench17POLYBENCH_FDTD_2D17runHipVariantImplILm256EEEvNSG_9VariantIDEEUlllE2_EEENS0_24HipStatementListExecutorISM_NS3_4listIJNS_9statement3ForILl0ENS_6policy3hip11hip_indexerINS_17iteration_mapping6DirectELNS_23kernel_sync_requirementE0EJNS_3hip11IndexGlobalILNS_9named_dimE1ELi8ELi0EEEEEEJNSQ_ILl1ENST_ISV_LSW_0EJNSY_ILSZ_0ELi32ELi0EEEEEEJNSP_6LambdaILl0EJEEEEEEEEEEEENS0_9LoopTypesINSO_IJvvEEES1A_EEEEEEvT0_
		.amdhsa_group_segment_fixed_size 0
		.amdhsa_private_segment_fixed_size 0
		.amdhsa_kernarg_size 224
		.amdhsa_user_sgpr_count 14
		.amdhsa_user_sgpr_dispatch_ptr 0
		.amdhsa_user_sgpr_queue_ptr 0
		.amdhsa_user_sgpr_kernarg_segment_ptr 1
		.amdhsa_user_sgpr_dispatch_id 0
		.amdhsa_user_sgpr_private_segment_size 0
		.amdhsa_wavefront_size32 1
		.amdhsa_uses_dynamic_stack 0
		.amdhsa_enable_private_segment 0
		.amdhsa_system_sgpr_workgroup_id_x 1
		.amdhsa_system_sgpr_workgroup_id_y 1
		.amdhsa_system_sgpr_workgroup_id_z 0
		.amdhsa_system_sgpr_workgroup_info 0
		.amdhsa_system_vgpr_workitem_id 1
		.amdhsa_next_free_vgpr 11
		.amdhsa_next_free_sgpr 16
		.amdhsa_reserve_vcc 1
		.amdhsa_float_round_mode_32 0
		.amdhsa_float_round_mode_16_64 0
		.amdhsa_float_denorm_mode_32 3
		.amdhsa_float_denorm_mode_16_64 3
		.amdhsa_dx10_clamp 1
		.amdhsa_ieee_mode 1
		.amdhsa_fp16_overflow 0
		.amdhsa_workgroup_processor_mode 1
		.amdhsa_memory_ordered 1
		.amdhsa_forward_progress 0
		.amdhsa_shared_vgpr_count 0
		.amdhsa_exception_fp_ieee_invalid_op 0
		.amdhsa_exception_fp_denorm_src 0
		.amdhsa_exception_fp_ieee_div_zero 0
		.amdhsa_exception_fp_ieee_overflow 0
		.amdhsa_exception_fp_ieee_underflow 0
		.amdhsa_exception_fp_ieee_inexact 0
		.amdhsa_exception_int_div_zero 0
	.end_amdhsa_kernel
	.section	.text._ZN4RAJA8internal22HipKernelLauncherFixedILi256ENS0_8LoopDataIN4camp5tupleIJNS_4SpanINS_9Iterators16numeric_iteratorIllPlEElEESA_EEENS4_IJEEENS3_9resources2v13HipEJZN8rajaperf9polybench17POLYBENCH_FDTD_2D17runHipVariantImplILm256EEEvNSG_9VariantIDEEUlllE2_EEENS0_24HipStatementListExecutorISM_NS3_4listIJNS_9statement3ForILl0ENS_6policy3hip11hip_indexerINS_17iteration_mapping6DirectELNS_23kernel_sync_requirementE0EJNS_3hip11IndexGlobalILNS_9named_dimE1ELi8ELi0EEEEEEJNSQ_ILl1ENST_ISV_LSW_0EJNSY_ILSZ_0ELi32ELi0EEEEEEJNSP_6LambdaILl0EJEEEEEEEEEEEENS0_9LoopTypesINSO_IJvvEEES1A_EEEEEEvT0_,"axG",@progbits,_ZN4RAJA8internal22HipKernelLauncherFixedILi256ENS0_8LoopDataIN4camp5tupleIJNS_4SpanINS_9Iterators16numeric_iteratorIllPlEElEESA_EEENS4_IJEEENS3_9resources2v13HipEJZN8rajaperf9polybench17POLYBENCH_FDTD_2D17runHipVariantImplILm256EEEvNSG_9VariantIDEEUlllE2_EEENS0_24HipStatementListExecutorISM_NS3_4listIJNS_9statement3ForILl0ENS_6policy3hip11hip_indexerINS_17iteration_mapping6DirectELNS_23kernel_sync_requirementE0EJNS_3hip11IndexGlobalILNS_9named_dimE1ELi8ELi0EEEEEEJNSQ_ILl1ENST_ISV_LSW_0EJNSY_ILSZ_0ELi32ELi0EEEEEEJNSP_6LambdaILl0EJEEEEEEEEEEEENS0_9LoopTypesINSO_IJvvEEES1A_EEEEEEvT0_,comdat
.Lfunc_end9:
	.size	_ZN4RAJA8internal22HipKernelLauncherFixedILi256ENS0_8LoopDataIN4camp5tupleIJNS_4SpanINS_9Iterators16numeric_iteratorIllPlEElEESA_EEENS4_IJEEENS3_9resources2v13HipEJZN8rajaperf9polybench17POLYBENCH_FDTD_2D17runHipVariantImplILm256EEEvNSG_9VariantIDEEUlllE2_EEENS0_24HipStatementListExecutorISM_NS3_4listIJNS_9statement3ForILl0ENS_6policy3hip11hip_indexerINS_17iteration_mapping6DirectELNS_23kernel_sync_requirementE0EJNS_3hip11IndexGlobalILNS_9named_dimE1ELi8ELi0EEEEEEJNSQ_ILl1ENST_ISV_LSW_0EJNSY_ILSZ_0ELi32ELi0EEEEEEJNSP_6LambdaILl0EJEEEEEEEEEEEENS0_9LoopTypesINSO_IJvvEEES1A_EEEEEEvT0_, .Lfunc_end9-_ZN4RAJA8internal22HipKernelLauncherFixedILi256ENS0_8LoopDataIN4camp5tupleIJNS_4SpanINS_9Iterators16numeric_iteratorIllPlEElEESA_EEENS4_IJEEENS3_9resources2v13HipEJZN8rajaperf9polybench17POLYBENCH_FDTD_2D17runHipVariantImplILm256EEEvNSG_9VariantIDEEUlllE2_EEENS0_24HipStatementListExecutorISM_NS3_4listIJNS_9statement3ForILl0ENS_6policy3hip11hip_indexerINS_17iteration_mapping6DirectELNS_23kernel_sync_requirementE0EJNS_3hip11IndexGlobalILNS_9named_dimE1ELi8ELi0EEEEEEJNSQ_ILl1ENST_ISV_LSW_0EJNSY_ILSZ_0ELi32ELi0EEEEEEJNSP_6LambdaILl0EJEEEEEEEEEEEENS0_9LoopTypesINSO_IJvvEEES1A_EEEEEEvT0_
                                        ; -- End function
	.section	.AMDGPU.csdata,"",@progbits
; Kernel info:
; codeLenInByte = 492
; NumSgprs: 18
; NumVgprs: 11
; ScratchSize: 0
; MemoryBound: 0
; FloatMode: 240
; IeeeMode: 1
; LDSByteSize: 0 bytes/workgroup (compile time only)
; SGPRBlocks: 2
; VGPRBlocks: 1
; NumSGPRsForWavesPerEU: 18
; NumVGPRsForWavesPerEU: 11
; Occupancy: 16
; WaveLimiterHint : 0
; COMPUTE_PGM_RSRC2:SCRATCH_EN: 0
; COMPUTE_PGM_RSRC2:USER_SGPR: 14
; COMPUTE_PGM_RSRC2:TRAP_HANDLER: 0
; COMPUTE_PGM_RSRC2:TGID_X_EN: 1
; COMPUTE_PGM_RSRC2:TGID_Y_EN: 1
; COMPUTE_PGM_RSRC2:TGID_Z_EN: 0
; COMPUTE_PGM_RSRC2:TIDIG_COMP_CNT: 1
	.section	.text._ZN4RAJA8internal22HipKernelLauncherFixedILi256ENS0_8LoopDataIN4camp5tupleIJNS_4SpanINS_9Iterators16numeric_iteratorIllPlEElEESA_EEENS4_IJEEENS3_9resources2v13HipEJZN8rajaperf9polybench17POLYBENCH_FDTD_2D17runHipVariantImplILm256EEEvNSG_9VariantIDEEUlllE3_EEENS0_24HipStatementListExecutorISM_NS3_4listIJNS_9statement3ForILl0ENS_6policy3hip11hip_indexerINS_17iteration_mapping6DirectELNS_23kernel_sync_requirementE0EJNS_3hip11IndexGlobalILNS_9named_dimE1ELi8ELi0EEEEEEJNSQ_ILl1ENST_ISV_LSW_0EJNSY_ILSZ_0ELi32ELi0EEEEEEJNSP_6LambdaILl0EJEEEEEEEEEEEENS0_9LoopTypesINSO_IJvvEEES1A_EEEEEEvT0_,"axG",@progbits,_ZN4RAJA8internal22HipKernelLauncherFixedILi256ENS0_8LoopDataIN4camp5tupleIJNS_4SpanINS_9Iterators16numeric_iteratorIllPlEElEESA_EEENS4_IJEEENS3_9resources2v13HipEJZN8rajaperf9polybench17POLYBENCH_FDTD_2D17runHipVariantImplILm256EEEvNSG_9VariantIDEEUlllE3_EEENS0_24HipStatementListExecutorISM_NS3_4listIJNS_9statement3ForILl0ENS_6policy3hip11hip_indexerINS_17iteration_mapping6DirectELNS_23kernel_sync_requirementE0EJNS_3hip11IndexGlobalILNS_9named_dimE1ELi8ELi0EEEEEEJNSQ_ILl1ENST_ISV_LSW_0EJNSY_ILSZ_0ELi32ELi0EEEEEEJNSP_6LambdaILl0EJEEEEEEEEEEEENS0_9LoopTypesINSO_IJvvEEES1A_EEEEEEvT0_,comdat
	.protected	_ZN4RAJA8internal22HipKernelLauncherFixedILi256ENS0_8LoopDataIN4camp5tupleIJNS_4SpanINS_9Iterators16numeric_iteratorIllPlEElEESA_EEENS4_IJEEENS3_9resources2v13HipEJZN8rajaperf9polybench17POLYBENCH_FDTD_2D17runHipVariantImplILm256EEEvNSG_9VariantIDEEUlllE3_EEENS0_24HipStatementListExecutorISM_NS3_4listIJNS_9statement3ForILl0ENS_6policy3hip11hip_indexerINS_17iteration_mapping6DirectELNS_23kernel_sync_requirementE0EJNS_3hip11IndexGlobalILNS_9named_dimE1ELi8ELi0EEEEEEJNSQ_ILl1ENST_ISV_LSW_0EJNSY_ILSZ_0ELi32ELi0EEEEEEJNSP_6LambdaILl0EJEEEEEEEEEEEENS0_9LoopTypesINSO_IJvvEEES1A_EEEEEEvT0_ ; -- Begin function _ZN4RAJA8internal22HipKernelLauncherFixedILi256ENS0_8LoopDataIN4camp5tupleIJNS_4SpanINS_9Iterators16numeric_iteratorIllPlEElEESA_EEENS4_IJEEENS3_9resources2v13HipEJZN8rajaperf9polybench17POLYBENCH_FDTD_2D17runHipVariantImplILm256EEEvNSG_9VariantIDEEUlllE3_EEENS0_24HipStatementListExecutorISM_NS3_4listIJNS_9statement3ForILl0ENS_6policy3hip11hip_indexerINS_17iteration_mapping6DirectELNS_23kernel_sync_requirementE0EJNS_3hip11IndexGlobalILNS_9named_dimE1ELi8ELi0EEEEEEJNSQ_ILl1ENST_ISV_LSW_0EJNSY_ILSZ_0ELi32ELi0EEEEEEJNSP_6LambdaILl0EJEEEEEEEEEEEENS0_9LoopTypesINSO_IJvvEEES1A_EEEEEEvT0_
	.globl	_ZN4RAJA8internal22HipKernelLauncherFixedILi256ENS0_8LoopDataIN4camp5tupleIJNS_4SpanINS_9Iterators16numeric_iteratorIllPlEElEESA_EEENS4_IJEEENS3_9resources2v13HipEJZN8rajaperf9polybench17POLYBENCH_FDTD_2D17runHipVariantImplILm256EEEvNSG_9VariantIDEEUlllE3_EEENS0_24HipStatementListExecutorISM_NS3_4listIJNS_9statement3ForILl0ENS_6policy3hip11hip_indexerINS_17iteration_mapping6DirectELNS_23kernel_sync_requirementE0EJNS_3hip11IndexGlobalILNS_9named_dimE1ELi8ELi0EEEEEEJNSQ_ILl1ENST_ISV_LSW_0EJNSY_ILSZ_0ELi32ELi0EEEEEEJNSP_6LambdaILl0EJEEEEEEEEEEEENS0_9LoopTypesINSO_IJvvEEES1A_EEEEEEvT0_
	.p2align	8
	.type	_ZN4RAJA8internal22HipKernelLauncherFixedILi256ENS0_8LoopDataIN4camp5tupleIJNS_4SpanINS_9Iterators16numeric_iteratorIllPlEElEESA_EEENS4_IJEEENS3_9resources2v13HipEJZN8rajaperf9polybench17POLYBENCH_FDTD_2D17runHipVariantImplILm256EEEvNSG_9VariantIDEEUlllE3_EEENS0_24HipStatementListExecutorISM_NS3_4listIJNS_9statement3ForILl0ENS_6policy3hip11hip_indexerINS_17iteration_mapping6DirectELNS_23kernel_sync_requirementE0EJNS_3hip11IndexGlobalILNS_9named_dimE1ELi8ELi0EEEEEEJNSQ_ILl1ENST_ISV_LSW_0EJNSY_ILSZ_0ELi32ELi0EEEEEEJNSP_6LambdaILl0EJEEEEEEEEEEEENS0_9LoopTypesINSO_IJvvEEES1A_EEEEEEvT0_,@function
_ZN4RAJA8internal22HipKernelLauncherFixedILi256ENS0_8LoopDataIN4camp5tupleIJNS_4SpanINS_9Iterators16numeric_iteratorIllPlEElEESA_EEENS4_IJEEENS3_9resources2v13HipEJZN8rajaperf9polybench17POLYBENCH_FDTD_2D17runHipVariantImplILm256EEEvNSG_9VariantIDEEUlllE3_EEENS0_24HipStatementListExecutorISM_NS3_4listIJNS_9statement3ForILl0ENS_6policy3hip11hip_indexerINS_17iteration_mapping6DirectELNS_23kernel_sync_requirementE0EJNS_3hip11IndexGlobalILNS_9named_dimE1ELi8ELi0EEEEEEJNSQ_ILl1ENST_ISV_LSW_0EJNSY_ILSZ_0ELi32ELi0EEEEEEJNSP_6LambdaILl0EJEEEEEEEEEEEENS0_9LoopTypesINSO_IJvvEEES1A_EEEEEEvT0_: ; @_ZN4RAJA8internal22HipKernelLauncherFixedILi256ENS0_8LoopDataIN4camp5tupleIJNS_4SpanINS_9Iterators16numeric_iteratorIllPlEElEESA_EEENS4_IJEEENS3_9resources2v13HipEJZN8rajaperf9polybench17POLYBENCH_FDTD_2D17runHipVariantImplILm256EEEvNSG_9VariantIDEEUlllE3_EEENS0_24HipStatementListExecutorISM_NS3_4listIJNS_9statement3ForILl0ENS_6policy3hip11hip_indexerINS_17iteration_mapping6DirectELNS_23kernel_sync_requirementE0EJNS_3hip11IndexGlobalILNS_9named_dimE1ELi8ELi0EEEEEEJNSQ_ILl1ENST_ISV_LSW_0EJNSY_ILSZ_0ELi32ELi0EEEEEEJNSP_6LambdaILl0EJEEEEEEEEEEEENS0_9LoopTypesINSO_IJvvEEES1A_EEEEEEvT0_
; %bb.0:
	s_load_b256 s[4:11], s[0:1], 0x0
	v_bfe_u32 v1, v0, 10, 10
	s_mov_b32 s2, s15
	s_mov_b32 s3, 0
	v_and_b32_e32 v0, 0x3ff, v0
	s_mov_b32 s15, s3
	s_waitcnt lgkmcnt(0)
	s_sub_u32 s6, s6, s4
	s_subb_u32 s7, s7, s5
	s_lshl_b64 s[2:3], s[2:3], 3
	s_sub_u32 s10, s10, s8
	v_add_co_u32 v2, s2, s2, v1
	s_delay_alu instid0(VALU_DEP_1) | instskip(SKIP_2) | instid1(SALU_CYCLE_1)
	v_add_co_ci_u32_e64 v3, null, s3, 0, s2
	s_subb_u32 s11, s11, s9
	s_lshl_b64 s[2:3], s[14:15], 5
	v_add_co_u32 v0, s2, s2, v0
	s_delay_alu instid0(VALU_DEP_1) | instskip(SKIP_1) | instid1(VALU_DEP_2)
	v_add_co_ci_u32_e64 v1, null, s3, 0, s2
	v_cmp_gt_i64_e32 vcc_lo, s[6:7], v[2:3]
	v_cmp_gt_i64_e64 s2, s[10:11], v[0:1]
	s_delay_alu instid0(VALU_DEP_1) | instskip(NEXT) | instid1(SALU_CYCLE_1)
	s_and_b32 s2, vcc_lo, s2
	s_and_saveexec_b32 s3, s2
	s_cbranch_execz .LBB10_2
; %bb.1:
	s_load_b64 s[2:3], s[0:1], 0x98
	v_add_co_u32 v8, vcc_lo, s4, v2
	v_add_co_ci_u32_e32 v6, vcc_lo, s5, v3, vcc_lo
	s_load_b64 s[4:5], s[0:1], 0x80
	v_add_co_u32 v0, vcc_lo, s8, v0
	v_add_co_ci_u32_e32 v1, vcc_lo, s9, v1, vcc_lo
	s_waitcnt lgkmcnt(0)
	v_mul_lo_u32 v4, s3, v8
	v_mul_lo_u32 v5, s2, v6
	v_mad_u64_u32 v[2:3], null, s2, v8, 0
	s_clause 0x1
	s_load_b64 s[2:3], s[0:1], 0x50
	s_load_b64 s[0:1], s[0:1], 0x38
	s_delay_alu instid0(VALU_DEP_1) | instskip(SKIP_1) | instid1(VALU_DEP_2)
	v_add3_u32 v3, v3, v5, v4
	v_lshlrev_b64 v[4:5], 3, v[0:1]
	v_lshlrev_b64 v[2:3], 3, v[2:3]
	s_delay_alu instid0(VALU_DEP_1) | instskip(NEXT) | instid1(VALU_DEP_2)
	v_add_co_u32 v0, vcc_lo, s4, v2
	v_add_co_ci_u32_e32 v1, vcc_lo, s5, v3, vcc_lo
	s_waitcnt lgkmcnt(0)
	v_mul_lo_u32 v9, s3, v8
	s_delay_alu instid0(VALU_DEP_3) | instskip(NEXT) | instid1(VALU_DEP_3)
	v_add_co_u32 v0, vcc_lo, v0, v4
	v_add_co_ci_u32_e32 v1, vcc_lo, v1, v5, vcc_lo
	v_mul_lo_u32 v10, s2, v6
	v_mad_u64_u32 v[6:7], null, s2, v8, 0
	global_load_b128 v[0:3], v[0:1], off offset:-8
	v_add3_u32 v7, v7, v10, v9
	s_delay_alu instid0(VALU_DEP_1) | instskip(NEXT) | instid1(VALU_DEP_1)
	v_lshlrev_b64 v[6:7], 3, v[6:7]
	v_add_co_u32 v6, vcc_lo, s0, v6
	s_delay_alu instid0(VALU_DEP_2) | instskip(NEXT) | instid1(VALU_DEP_2)
	v_add_co_ci_u32_e32 v7, vcc_lo, s1, v7, vcc_lo
	v_add_co_u32 v4, vcc_lo, v6, v4
	s_delay_alu instid0(VALU_DEP_2) | instskip(SKIP_4) | instid1(VALU_DEP_1)
	v_add_co_ci_u32_e32 v5, vcc_lo, v7, v5, vcc_lo
	global_load_b64 v[6:7], v[4:5], off
	s_waitcnt vmcnt(1)
	v_add_f64 v[0:1], v[2:3], -v[0:1]
	s_waitcnt vmcnt(0)
	v_fma_f64 v[0:1], v[0:1], -0.5, v[6:7]
	global_store_b64 v[4:5], v[0:1], off
.LBB10_2:
	s_nop 0
	s_sendmsg sendmsg(MSG_DEALLOC_VGPRS)
	s_endpgm
	.section	.rodata,"a",@progbits
	.p2align	6, 0x0
	.amdhsa_kernel _ZN4RAJA8internal22HipKernelLauncherFixedILi256ENS0_8LoopDataIN4camp5tupleIJNS_4SpanINS_9Iterators16numeric_iteratorIllPlEElEESA_EEENS4_IJEEENS3_9resources2v13HipEJZN8rajaperf9polybench17POLYBENCH_FDTD_2D17runHipVariantImplILm256EEEvNSG_9VariantIDEEUlllE3_EEENS0_24HipStatementListExecutorISM_NS3_4listIJNS_9statement3ForILl0ENS_6policy3hip11hip_indexerINS_17iteration_mapping6DirectELNS_23kernel_sync_requirementE0EJNS_3hip11IndexGlobalILNS_9named_dimE1ELi8ELi0EEEEEEJNSQ_ILl1ENST_ISV_LSW_0EJNSY_ILSZ_0ELi32ELi0EEEEEEJNSP_6LambdaILl0EJEEEEEEEEEEEENS0_9LoopTypesINSO_IJvvEEES1A_EEEEEEvT0_
		.amdhsa_group_segment_fixed_size 0
		.amdhsa_private_segment_fixed_size 0
		.amdhsa_kernarg_size 224
		.amdhsa_user_sgpr_count 14
		.amdhsa_user_sgpr_dispatch_ptr 0
		.amdhsa_user_sgpr_queue_ptr 0
		.amdhsa_user_sgpr_kernarg_segment_ptr 1
		.amdhsa_user_sgpr_dispatch_id 0
		.amdhsa_user_sgpr_private_segment_size 0
		.amdhsa_wavefront_size32 1
		.amdhsa_uses_dynamic_stack 0
		.amdhsa_enable_private_segment 0
		.amdhsa_system_sgpr_workgroup_id_x 1
		.amdhsa_system_sgpr_workgroup_id_y 1
		.amdhsa_system_sgpr_workgroup_id_z 0
		.amdhsa_system_sgpr_workgroup_info 0
		.amdhsa_system_vgpr_workitem_id 1
		.amdhsa_next_free_vgpr 11
		.amdhsa_next_free_sgpr 16
		.amdhsa_reserve_vcc 1
		.amdhsa_float_round_mode_32 0
		.amdhsa_float_round_mode_16_64 0
		.amdhsa_float_denorm_mode_32 3
		.amdhsa_float_denorm_mode_16_64 3
		.amdhsa_dx10_clamp 1
		.amdhsa_ieee_mode 1
		.amdhsa_fp16_overflow 0
		.amdhsa_workgroup_processor_mode 1
		.amdhsa_memory_ordered 1
		.amdhsa_forward_progress 0
		.amdhsa_shared_vgpr_count 0
		.amdhsa_exception_fp_ieee_invalid_op 0
		.amdhsa_exception_fp_denorm_src 0
		.amdhsa_exception_fp_ieee_div_zero 0
		.amdhsa_exception_fp_ieee_overflow 0
		.amdhsa_exception_fp_ieee_underflow 0
		.amdhsa_exception_fp_ieee_inexact 0
		.amdhsa_exception_int_div_zero 0
	.end_amdhsa_kernel
	.section	.text._ZN4RAJA8internal22HipKernelLauncherFixedILi256ENS0_8LoopDataIN4camp5tupleIJNS_4SpanINS_9Iterators16numeric_iteratorIllPlEElEESA_EEENS4_IJEEENS3_9resources2v13HipEJZN8rajaperf9polybench17POLYBENCH_FDTD_2D17runHipVariantImplILm256EEEvNSG_9VariantIDEEUlllE3_EEENS0_24HipStatementListExecutorISM_NS3_4listIJNS_9statement3ForILl0ENS_6policy3hip11hip_indexerINS_17iteration_mapping6DirectELNS_23kernel_sync_requirementE0EJNS_3hip11IndexGlobalILNS_9named_dimE1ELi8ELi0EEEEEEJNSQ_ILl1ENST_ISV_LSW_0EJNSY_ILSZ_0ELi32ELi0EEEEEEJNSP_6LambdaILl0EJEEEEEEEEEEEENS0_9LoopTypesINSO_IJvvEEES1A_EEEEEEvT0_,"axG",@progbits,_ZN4RAJA8internal22HipKernelLauncherFixedILi256ENS0_8LoopDataIN4camp5tupleIJNS_4SpanINS_9Iterators16numeric_iteratorIllPlEElEESA_EEENS4_IJEEENS3_9resources2v13HipEJZN8rajaperf9polybench17POLYBENCH_FDTD_2D17runHipVariantImplILm256EEEvNSG_9VariantIDEEUlllE3_EEENS0_24HipStatementListExecutorISM_NS3_4listIJNS_9statement3ForILl0ENS_6policy3hip11hip_indexerINS_17iteration_mapping6DirectELNS_23kernel_sync_requirementE0EJNS_3hip11IndexGlobalILNS_9named_dimE1ELi8ELi0EEEEEEJNSQ_ILl1ENST_ISV_LSW_0EJNSY_ILSZ_0ELi32ELi0EEEEEEJNSP_6LambdaILl0EJEEEEEEEEEEEENS0_9LoopTypesINSO_IJvvEEES1A_EEEEEEvT0_,comdat
.Lfunc_end10:
	.size	_ZN4RAJA8internal22HipKernelLauncherFixedILi256ENS0_8LoopDataIN4camp5tupleIJNS_4SpanINS_9Iterators16numeric_iteratorIllPlEElEESA_EEENS4_IJEEENS3_9resources2v13HipEJZN8rajaperf9polybench17POLYBENCH_FDTD_2D17runHipVariantImplILm256EEEvNSG_9VariantIDEEUlllE3_EEENS0_24HipStatementListExecutorISM_NS3_4listIJNS_9statement3ForILl0ENS_6policy3hip11hip_indexerINS_17iteration_mapping6DirectELNS_23kernel_sync_requirementE0EJNS_3hip11IndexGlobalILNS_9named_dimE1ELi8ELi0EEEEEEJNSQ_ILl1ENST_ISV_LSW_0EJNSY_ILSZ_0ELi32ELi0EEEEEEJNSP_6LambdaILl0EJEEEEEEEEEEEENS0_9LoopTypesINSO_IJvvEEES1A_EEEEEEvT0_, .Lfunc_end10-_ZN4RAJA8internal22HipKernelLauncherFixedILi256ENS0_8LoopDataIN4camp5tupleIJNS_4SpanINS_9Iterators16numeric_iteratorIllPlEElEESA_EEENS4_IJEEENS3_9resources2v13HipEJZN8rajaperf9polybench17POLYBENCH_FDTD_2D17runHipVariantImplILm256EEEvNSG_9VariantIDEEUlllE3_EEENS0_24HipStatementListExecutorISM_NS3_4listIJNS_9statement3ForILl0ENS_6policy3hip11hip_indexerINS_17iteration_mapping6DirectELNS_23kernel_sync_requirementE0EJNS_3hip11IndexGlobalILNS_9named_dimE1ELi8ELi0EEEEEEJNSQ_ILl1ENST_ISV_LSW_0EJNSY_ILSZ_0ELi32ELi0EEEEEEJNSP_6LambdaILl0EJEEEEEEEEEEEENS0_9LoopTypesINSO_IJvvEEES1A_EEEEEEvT0_
                                        ; -- End function
	.section	.AMDGPU.csdata,"",@progbits
; Kernel info:
; codeLenInByte = 420
; NumSgprs: 18
; NumVgprs: 11
; ScratchSize: 0
; MemoryBound: 0
; FloatMode: 240
; IeeeMode: 1
; LDSByteSize: 0 bytes/workgroup (compile time only)
; SGPRBlocks: 2
; VGPRBlocks: 1
; NumSGPRsForWavesPerEU: 18
; NumVGPRsForWavesPerEU: 11
; Occupancy: 16
; WaveLimiterHint : 0
; COMPUTE_PGM_RSRC2:SCRATCH_EN: 0
; COMPUTE_PGM_RSRC2:USER_SGPR: 14
; COMPUTE_PGM_RSRC2:TRAP_HANDLER: 0
; COMPUTE_PGM_RSRC2:TGID_X_EN: 1
; COMPUTE_PGM_RSRC2:TGID_Y_EN: 1
; COMPUTE_PGM_RSRC2:TGID_Z_EN: 0
; COMPUTE_PGM_RSRC2:TIDIG_COMP_CNT: 1
	.section	.text._ZN4RAJA8internal22HipKernelLauncherFixedILi256ENS0_8LoopDataIN4camp5tupleIJNS_4SpanINS_9Iterators16numeric_iteratorIllPlEElEESA_EEENS4_IJEEENS3_9resources2v13HipEJZN8rajaperf9polybench17POLYBENCH_FDTD_2D17runHipVariantImplILm256EEEvNSG_9VariantIDEEUlllE4_EEENS0_24HipStatementListExecutorISM_NS3_4listIJNS_9statement3ForILl0ENS_6policy3hip11hip_indexerINS_17iteration_mapping6DirectELNS_23kernel_sync_requirementE0EJNS_3hip11IndexGlobalILNS_9named_dimE1ELi8ELi0EEEEEEJNSQ_ILl1ENST_ISV_LSW_0EJNSY_ILSZ_0ELi32ELi0EEEEEEJNSP_6LambdaILl0EJEEEEEEEEEEEENS0_9LoopTypesINSO_IJvvEEES1A_EEEEEEvT0_,"axG",@progbits,_ZN4RAJA8internal22HipKernelLauncherFixedILi256ENS0_8LoopDataIN4camp5tupleIJNS_4SpanINS_9Iterators16numeric_iteratorIllPlEElEESA_EEENS4_IJEEENS3_9resources2v13HipEJZN8rajaperf9polybench17POLYBENCH_FDTD_2D17runHipVariantImplILm256EEEvNSG_9VariantIDEEUlllE4_EEENS0_24HipStatementListExecutorISM_NS3_4listIJNS_9statement3ForILl0ENS_6policy3hip11hip_indexerINS_17iteration_mapping6DirectELNS_23kernel_sync_requirementE0EJNS_3hip11IndexGlobalILNS_9named_dimE1ELi8ELi0EEEEEEJNSQ_ILl1ENST_ISV_LSW_0EJNSY_ILSZ_0ELi32ELi0EEEEEEJNSP_6LambdaILl0EJEEEEEEEEEEEENS0_9LoopTypesINSO_IJvvEEES1A_EEEEEEvT0_,comdat
	.protected	_ZN4RAJA8internal22HipKernelLauncherFixedILi256ENS0_8LoopDataIN4camp5tupleIJNS_4SpanINS_9Iterators16numeric_iteratorIllPlEElEESA_EEENS4_IJEEENS3_9resources2v13HipEJZN8rajaperf9polybench17POLYBENCH_FDTD_2D17runHipVariantImplILm256EEEvNSG_9VariantIDEEUlllE4_EEENS0_24HipStatementListExecutorISM_NS3_4listIJNS_9statement3ForILl0ENS_6policy3hip11hip_indexerINS_17iteration_mapping6DirectELNS_23kernel_sync_requirementE0EJNS_3hip11IndexGlobalILNS_9named_dimE1ELi8ELi0EEEEEEJNSQ_ILl1ENST_ISV_LSW_0EJNSY_ILSZ_0ELi32ELi0EEEEEEJNSP_6LambdaILl0EJEEEEEEEEEEEENS0_9LoopTypesINSO_IJvvEEES1A_EEEEEEvT0_ ; -- Begin function _ZN4RAJA8internal22HipKernelLauncherFixedILi256ENS0_8LoopDataIN4camp5tupleIJNS_4SpanINS_9Iterators16numeric_iteratorIllPlEElEESA_EEENS4_IJEEENS3_9resources2v13HipEJZN8rajaperf9polybench17POLYBENCH_FDTD_2D17runHipVariantImplILm256EEEvNSG_9VariantIDEEUlllE4_EEENS0_24HipStatementListExecutorISM_NS3_4listIJNS_9statement3ForILl0ENS_6policy3hip11hip_indexerINS_17iteration_mapping6DirectELNS_23kernel_sync_requirementE0EJNS_3hip11IndexGlobalILNS_9named_dimE1ELi8ELi0EEEEEEJNSQ_ILl1ENST_ISV_LSW_0EJNSY_ILSZ_0ELi32ELi0EEEEEEJNSP_6LambdaILl0EJEEEEEEEEEEEENS0_9LoopTypesINSO_IJvvEEES1A_EEEEEEvT0_
	.globl	_ZN4RAJA8internal22HipKernelLauncherFixedILi256ENS0_8LoopDataIN4camp5tupleIJNS_4SpanINS_9Iterators16numeric_iteratorIllPlEElEESA_EEENS4_IJEEENS3_9resources2v13HipEJZN8rajaperf9polybench17POLYBENCH_FDTD_2D17runHipVariantImplILm256EEEvNSG_9VariantIDEEUlllE4_EEENS0_24HipStatementListExecutorISM_NS3_4listIJNS_9statement3ForILl0ENS_6policy3hip11hip_indexerINS_17iteration_mapping6DirectELNS_23kernel_sync_requirementE0EJNS_3hip11IndexGlobalILNS_9named_dimE1ELi8ELi0EEEEEEJNSQ_ILl1ENST_ISV_LSW_0EJNSY_ILSZ_0ELi32ELi0EEEEEEJNSP_6LambdaILl0EJEEEEEEEEEEEENS0_9LoopTypesINSO_IJvvEEES1A_EEEEEEvT0_
	.p2align	8
	.type	_ZN4RAJA8internal22HipKernelLauncherFixedILi256ENS0_8LoopDataIN4camp5tupleIJNS_4SpanINS_9Iterators16numeric_iteratorIllPlEElEESA_EEENS4_IJEEENS3_9resources2v13HipEJZN8rajaperf9polybench17POLYBENCH_FDTD_2D17runHipVariantImplILm256EEEvNSG_9VariantIDEEUlllE4_EEENS0_24HipStatementListExecutorISM_NS3_4listIJNS_9statement3ForILl0ENS_6policy3hip11hip_indexerINS_17iteration_mapping6DirectELNS_23kernel_sync_requirementE0EJNS_3hip11IndexGlobalILNS_9named_dimE1ELi8ELi0EEEEEEJNSQ_ILl1ENST_ISV_LSW_0EJNSY_ILSZ_0ELi32ELi0EEEEEEJNSP_6LambdaILl0EJEEEEEEEEEEEENS0_9LoopTypesINSO_IJvvEEES1A_EEEEEEvT0_,@function
_ZN4RAJA8internal22HipKernelLauncherFixedILi256ENS0_8LoopDataIN4camp5tupleIJNS_4SpanINS_9Iterators16numeric_iteratorIllPlEElEESA_EEENS4_IJEEENS3_9resources2v13HipEJZN8rajaperf9polybench17POLYBENCH_FDTD_2D17runHipVariantImplILm256EEEvNSG_9VariantIDEEUlllE4_EEENS0_24HipStatementListExecutorISM_NS3_4listIJNS_9statement3ForILl0ENS_6policy3hip11hip_indexerINS_17iteration_mapping6DirectELNS_23kernel_sync_requirementE0EJNS_3hip11IndexGlobalILNS_9named_dimE1ELi8ELi0EEEEEEJNSQ_ILl1ENST_ISV_LSW_0EJNSY_ILSZ_0ELi32ELi0EEEEEEJNSP_6LambdaILl0EJEEEEEEEEEEEENS0_9LoopTypesINSO_IJvvEEES1A_EEEEEEvT0_: ; @_ZN4RAJA8internal22HipKernelLauncherFixedILi256ENS0_8LoopDataIN4camp5tupleIJNS_4SpanINS_9Iterators16numeric_iteratorIllPlEElEESA_EEENS4_IJEEENS3_9resources2v13HipEJZN8rajaperf9polybench17POLYBENCH_FDTD_2D17runHipVariantImplILm256EEEvNSG_9VariantIDEEUlllE4_EEENS0_24HipStatementListExecutorISM_NS3_4listIJNS_9statement3ForILl0ENS_6policy3hip11hip_indexerINS_17iteration_mapping6DirectELNS_23kernel_sync_requirementE0EJNS_3hip11IndexGlobalILNS_9named_dimE1ELi8ELi0EEEEEEJNSQ_ILl1ENST_ISV_LSW_0EJNSY_ILSZ_0ELi32ELi0EEEEEEJNSP_6LambdaILl0EJEEEEEEEEEEEENS0_9LoopTypesINSO_IJvvEEES1A_EEEEEEvT0_
; %bb.0:
	s_load_b256 s[4:11], s[0:1], 0x0
	v_bfe_u32 v1, v0, 10, 10
	s_mov_b32 s2, s15
	s_mov_b32 s3, 0
	v_and_b32_e32 v0, 0x3ff, v0
	s_mov_b32 s15, s3
	s_waitcnt lgkmcnt(0)
	s_sub_u32 s6, s6, s4
	s_subb_u32 s7, s7, s5
	s_lshl_b64 s[2:3], s[2:3], 3
	s_sub_u32 s10, s10, s8
	v_add_co_u32 v2, s2, s2, v1
	s_delay_alu instid0(VALU_DEP_1) | instskip(SKIP_2) | instid1(SALU_CYCLE_1)
	v_add_co_ci_u32_e64 v3, null, s3, 0, s2
	s_subb_u32 s11, s11, s9
	s_lshl_b64 s[2:3], s[14:15], 5
	v_add_co_u32 v0, s2, s2, v0
	s_delay_alu instid0(VALU_DEP_1) | instskip(SKIP_1) | instid1(VALU_DEP_2)
	v_add_co_ci_u32_e64 v1, null, s3, 0, s2
	v_cmp_gt_i64_e32 vcc_lo, s[6:7], v[2:3]
	v_cmp_gt_i64_e64 s2, s[10:11], v[0:1]
	s_delay_alu instid0(VALU_DEP_1) | instskip(NEXT) | instid1(SALU_CYCLE_1)
	s_and_b32 s2, vcc_lo, s2
	s_and_saveexec_b32 s3, s2
	s_cbranch_execz .LBB11_2
; %bb.1:
	s_load_b64 s[2:3], s[0:1], 0x98
	v_add_co_u32 v12, vcc_lo, s4, v2
	v_add_co_ci_u32_e32 v10, vcc_lo, s5, v3, vcc_lo
	s_clause 0x1
	s_load_b64 s[4:5], s[0:1], 0x80
	s_load_b64 s[6:7], s[0:1], 0x50
	v_add_co_u32 v0, vcc_lo, s8, v0
	v_add_co_ci_u32_e32 v1, vcc_lo, s9, v1, vcc_lo
	s_waitcnt lgkmcnt(0)
	v_mul_lo_u32 v4, s3, v12
	v_mul_lo_u32 v5, s2, v10
	v_mad_u64_u32 v[2:3], null, s2, v12, 0
	s_load_b64 s[2:3], s[0:1], 0xe0
	v_mul_lo_u32 v13, s7, v12
	v_mul_lo_u32 v14, s6, v10
	s_delay_alu instid0(VALU_DEP_3) | instskip(SKIP_1) | instid1(VALU_DEP_2)
	v_add3_u32 v3, v3, v5, v4
	v_lshlrev_b64 v[4:5], 3, v[0:1]
	v_lshlrev_b64 v[2:3], 3, v[2:3]
	s_delay_alu instid0(VALU_DEP_1) | instskip(NEXT) | instid1(VALU_DEP_2)
	v_add_co_u32 v0, vcc_lo, s4, v2
	v_add_co_ci_u32_e32 v1, vcc_lo, s5, v3, vcc_lo
	s_load_b64 s[4:5], s[0:1], 0xc8
	s_delay_alu instid0(VALU_DEP_2) | instskip(NEXT) | instid1(VALU_DEP_2)
	v_add_co_u32 v0, vcc_lo, v0, v4
	v_add_co_ci_u32_e32 v1, vcc_lo, v1, v5, vcc_lo
	s_waitcnt lgkmcnt(0)
	v_mul_lo_u32 v8, s3, v12
	v_mul_lo_u32 v9, s2, v10
	v_mad_u64_u32 v[6:7], null, s2, v12, 0
	global_load_b128 v[0:3], v[0:1], off
	s_load_b64 s[0:1], s[0:1], 0x38
	v_mad_u64_u32 v[10:11], null, s6, v12, 0
	v_add3_u32 v7, v7, v9, v8
	v_add_co_u32 v8, vcc_lo, v6, s2
	s_delay_alu instid0(VALU_DEP_3) | instskip(NEXT) | instid1(VALU_DEP_3)
	v_add3_u32 v11, v11, v14, v13
	v_add_co_ci_u32_e32 v9, vcc_lo, s3, v7, vcc_lo
	v_lshlrev_b64 v[6:7], 3, v[6:7]
	s_delay_alu instid0(VALU_DEP_3) | instskip(NEXT) | instid1(VALU_DEP_3)
	v_lshlrev_b64 v[10:11], 3, v[10:11]
	v_lshlrev_b64 v[8:9], 3, v[8:9]
	s_delay_alu instid0(VALU_DEP_1) | instskip(NEXT) | instid1(VALU_DEP_2)
	v_add_co_u32 v8, vcc_lo, s4, v8
	v_add_co_ci_u32_e32 v9, vcc_lo, s5, v9, vcc_lo
	s_delay_alu instid0(VALU_DEP_2) | instskip(NEXT) | instid1(VALU_DEP_2)
	v_add_co_u32 v8, vcc_lo, v8, v4
	v_add_co_ci_u32_e32 v9, vcc_lo, v9, v5, vcc_lo
	v_add_co_u32 v6, vcc_lo, s4, v6
	v_add_co_ci_u32_e32 v7, vcc_lo, s5, v7, vcc_lo
	global_load_b64 v[8:9], v[8:9], off
	v_add_co_u32 v6, vcc_lo, v6, v4
	v_add_co_ci_u32_e32 v7, vcc_lo, v7, v5, vcc_lo
	s_waitcnt lgkmcnt(0)
	v_add_co_u32 v10, vcc_lo, s0, v10
	v_add_co_ci_u32_e32 v11, vcc_lo, s1, v11, vcc_lo
	global_load_b64 v[6:7], v[6:7], off
	v_add_co_u32 v4, vcc_lo, v10, v4
	v_add_co_ci_u32_e32 v5, vcc_lo, v11, v5, vcc_lo
	s_mov_b32 s0, 0x66666666
	s_mov_b32 s1, 0xbfe66666
	global_load_b64 v[10:11], v[4:5], off
	s_waitcnt vmcnt(3)
	v_add_f64 v[0:1], v[2:3], -v[0:1]
	s_waitcnt vmcnt(2)
	s_delay_alu instid0(VALU_DEP_1) | instskip(SKIP_1) | instid1(VALU_DEP_1)
	v_add_f64 v[0:1], v[0:1], v[8:9]
	s_waitcnt vmcnt(1)
	v_add_f64 v[0:1], v[0:1], -v[6:7]
	s_waitcnt vmcnt(0)
	s_delay_alu instid0(VALU_DEP_1)
	v_fma_f64 v[0:1], v[0:1], s[0:1], v[10:11]
	global_store_b64 v[4:5], v[0:1], off
.LBB11_2:
	s_nop 0
	s_sendmsg sendmsg(MSG_DEALLOC_VGPRS)
	s_endpgm
	.section	.rodata,"a",@progbits
	.p2align	6, 0x0
	.amdhsa_kernel _ZN4RAJA8internal22HipKernelLauncherFixedILi256ENS0_8LoopDataIN4camp5tupleIJNS_4SpanINS_9Iterators16numeric_iteratorIllPlEElEESA_EEENS4_IJEEENS3_9resources2v13HipEJZN8rajaperf9polybench17POLYBENCH_FDTD_2D17runHipVariantImplILm256EEEvNSG_9VariantIDEEUlllE4_EEENS0_24HipStatementListExecutorISM_NS3_4listIJNS_9statement3ForILl0ENS_6policy3hip11hip_indexerINS_17iteration_mapping6DirectELNS_23kernel_sync_requirementE0EJNS_3hip11IndexGlobalILNS_9named_dimE1ELi8ELi0EEEEEEJNSQ_ILl1ENST_ISV_LSW_0EJNSY_ILSZ_0ELi32ELi0EEEEEEJNSP_6LambdaILl0EJEEEEEEEEEEEENS0_9LoopTypesINSO_IJvvEEES1A_EEEEEEvT0_
		.amdhsa_group_segment_fixed_size 0
		.amdhsa_private_segment_fixed_size 0
		.amdhsa_kernarg_size 296
		.amdhsa_user_sgpr_count 14
		.amdhsa_user_sgpr_dispatch_ptr 0
		.amdhsa_user_sgpr_queue_ptr 0
		.amdhsa_user_sgpr_kernarg_segment_ptr 1
		.amdhsa_user_sgpr_dispatch_id 0
		.amdhsa_user_sgpr_private_segment_size 0
		.amdhsa_wavefront_size32 1
		.amdhsa_uses_dynamic_stack 0
		.amdhsa_enable_private_segment 0
		.amdhsa_system_sgpr_workgroup_id_x 1
		.amdhsa_system_sgpr_workgroup_id_y 1
		.amdhsa_system_sgpr_workgroup_id_z 0
		.amdhsa_system_sgpr_workgroup_info 0
		.amdhsa_system_vgpr_workitem_id 1
		.amdhsa_next_free_vgpr 15
		.amdhsa_next_free_sgpr 16
		.amdhsa_reserve_vcc 1
		.amdhsa_float_round_mode_32 0
		.amdhsa_float_round_mode_16_64 0
		.amdhsa_float_denorm_mode_32 3
		.amdhsa_float_denorm_mode_16_64 3
		.amdhsa_dx10_clamp 1
		.amdhsa_ieee_mode 1
		.amdhsa_fp16_overflow 0
		.amdhsa_workgroup_processor_mode 1
		.amdhsa_memory_ordered 1
		.amdhsa_forward_progress 0
		.amdhsa_shared_vgpr_count 0
		.amdhsa_exception_fp_ieee_invalid_op 0
		.amdhsa_exception_fp_denorm_src 0
		.amdhsa_exception_fp_ieee_div_zero 0
		.amdhsa_exception_fp_ieee_overflow 0
		.amdhsa_exception_fp_ieee_underflow 0
		.amdhsa_exception_fp_ieee_inexact 0
		.amdhsa_exception_int_div_zero 0
	.end_amdhsa_kernel
	.section	.text._ZN4RAJA8internal22HipKernelLauncherFixedILi256ENS0_8LoopDataIN4camp5tupleIJNS_4SpanINS_9Iterators16numeric_iteratorIllPlEElEESA_EEENS4_IJEEENS3_9resources2v13HipEJZN8rajaperf9polybench17POLYBENCH_FDTD_2D17runHipVariantImplILm256EEEvNSG_9VariantIDEEUlllE4_EEENS0_24HipStatementListExecutorISM_NS3_4listIJNS_9statement3ForILl0ENS_6policy3hip11hip_indexerINS_17iteration_mapping6DirectELNS_23kernel_sync_requirementE0EJNS_3hip11IndexGlobalILNS_9named_dimE1ELi8ELi0EEEEEEJNSQ_ILl1ENST_ISV_LSW_0EJNSY_ILSZ_0ELi32ELi0EEEEEEJNSP_6LambdaILl0EJEEEEEEEEEEEENS0_9LoopTypesINSO_IJvvEEES1A_EEEEEEvT0_,"axG",@progbits,_ZN4RAJA8internal22HipKernelLauncherFixedILi256ENS0_8LoopDataIN4camp5tupleIJNS_4SpanINS_9Iterators16numeric_iteratorIllPlEElEESA_EEENS4_IJEEENS3_9resources2v13HipEJZN8rajaperf9polybench17POLYBENCH_FDTD_2D17runHipVariantImplILm256EEEvNSG_9VariantIDEEUlllE4_EEENS0_24HipStatementListExecutorISM_NS3_4listIJNS_9statement3ForILl0ENS_6policy3hip11hip_indexerINS_17iteration_mapping6DirectELNS_23kernel_sync_requirementE0EJNS_3hip11IndexGlobalILNS_9named_dimE1ELi8ELi0EEEEEEJNSQ_ILl1ENST_ISV_LSW_0EJNSY_ILSZ_0ELi32ELi0EEEEEEJNSP_6LambdaILl0EJEEEEEEEEEEEENS0_9LoopTypesINSO_IJvvEEES1A_EEEEEEvT0_,comdat
.Lfunc_end11:
	.size	_ZN4RAJA8internal22HipKernelLauncherFixedILi256ENS0_8LoopDataIN4camp5tupleIJNS_4SpanINS_9Iterators16numeric_iteratorIllPlEElEESA_EEENS4_IJEEENS3_9resources2v13HipEJZN8rajaperf9polybench17POLYBENCH_FDTD_2D17runHipVariantImplILm256EEEvNSG_9VariantIDEEUlllE4_EEENS0_24HipStatementListExecutorISM_NS3_4listIJNS_9statement3ForILl0ENS_6policy3hip11hip_indexerINS_17iteration_mapping6DirectELNS_23kernel_sync_requirementE0EJNS_3hip11IndexGlobalILNS_9named_dimE1ELi8ELi0EEEEEEJNSQ_ILl1ENST_ISV_LSW_0EJNSY_ILSZ_0ELi32ELi0EEEEEEJNSP_6LambdaILl0EJEEEEEEEEEEEENS0_9LoopTypesINSO_IJvvEEES1A_EEEEEEvT0_, .Lfunc_end11-_ZN4RAJA8internal22HipKernelLauncherFixedILi256ENS0_8LoopDataIN4camp5tupleIJNS_4SpanINS_9Iterators16numeric_iteratorIllPlEElEESA_EEENS4_IJEEENS3_9resources2v13HipEJZN8rajaperf9polybench17POLYBENCH_FDTD_2D17runHipVariantImplILm256EEEvNSG_9VariantIDEEUlllE4_EEENS0_24HipStatementListExecutorISM_NS3_4listIJNS_9statement3ForILl0ENS_6policy3hip11hip_indexerINS_17iteration_mapping6DirectELNS_23kernel_sync_requirementE0EJNS_3hip11IndexGlobalILNS_9named_dimE1ELi8ELi0EEEEEEJNSQ_ILl1ENST_ISV_LSW_0EJNSY_ILSZ_0ELi32ELi0EEEEEEJNSP_6LambdaILl0EJEEEEEEEEEEEENS0_9LoopTypesINSO_IJvvEEES1A_EEEEEEvT0_
                                        ; -- End function
	.section	.AMDGPU.csdata,"",@progbits
; Kernel info:
; codeLenInByte = 616
; NumSgprs: 18
; NumVgprs: 15
; ScratchSize: 0
; MemoryBound: 0
; FloatMode: 240
; IeeeMode: 1
; LDSByteSize: 0 bytes/workgroup (compile time only)
; SGPRBlocks: 2
; VGPRBlocks: 1
; NumSGPRsForWavesPerEU: 18
; NumVGPRsForWavesPerEU: 15
; Occupancy: 16
; WaveLimiterHint : 0
; COMPUTE_PGM_RSRC2:SCRATCH_EN: 0
; COMPUTE_PGM_RSRC2:USER_SGPR: 14
; COMPUTE_PGM_RSRC2:TRAP_HANDLER: 0
; COMPUTE_PGM_RSRC2:TGID_X_EN: 1
; COMPUTE_PGM_RSRC2:TGID_Y_EN: 1
; COMPUTE_PGM_RSRC2:TGID_Z_EN: 0
; COMPUTE_PGM_RSRC2:TIDIG_COMP_CNT: 1
	.text
	.p2alignl 7, 3214868480
	.fill 96, 4, 3214868480
	.type	__hip_cuid_3d193625e31a7d7b,@object ; @__hip_cuid_3d193625e31a7d7b
	.section	.bss,"aw",@nobits
	.globl	__hip_cuid_3d193625e31a7d7b
__hip_cuid_3d193625e31a7d7b:
	.byte	0                               ; 0x0
	.size	__hip_cuid_3d193625e31a7d7b, 1

	.ident	"AMD clang version 19.0.0git (https://github.com/RadeonOpenCompute/llvm-project roc-6.4.0 25133 c7fe45cf4b819c5991fe208aaa96edf142730f1d)"
	.section	".note.GNU-stack","",@progbits
	.addrsig
	.addrsig_sym __hip_cuid_3d193625e31a7d7b
	.amdgpu_metadata
---
amdhsa.kernels:
  - .args:
      - .address_space:  global
        .offset:         0
        .size:           8
        .value_kind:     global_buffer
      - .address_space:  global
        .offset:         8
        .size:           8
        .value_kind:     global_buffer
      - .offset:         16
        .size:           8
        .value_kind:     by_value
      - .offset:         24
        .size:           8
        .value_kind:     by_value
    .group_segment_fixed_size: 0
    .kernarg_segment_align: 8
    .kernarg_segment_size: 32
    .language:       OpenCL C
    .language_version:
      - 2
      - 0
    .max_flat_workgroup_size: 256
    .name:           _ZN8rajaperf9polybench13poly_fdtd2d_1ILm256EEEvPdS2_ll
    .private_segment_fixed_size: 0
    .sgpr_count:     18
    .sgpr_spill_count: 0
    .symbol:         _ZN8rajaperf9polybench13poly_fdtd2d_1ILm256EEEvPdS2_ll.kd
    .uniform_work_group_size: 1
    .uses_dynamic_stack: false
    .vgpr_count:     4
    .vgpr_spill_count: 0
    .wavefront_size: 32
    .workgroup_processor_mode: 1
  - .args:
      - .address_space:  global
        .offset:         0
        .size:           8
        .value_kind:     global_buffer
      - .address_space:  global
        .offset:         8
        .size:           8
        .value_kind:     global_buffer
      - .offset:         16
        .size:           8
        .value_kind:     by_value
      - .offset:         24
        .size:           8
        .value_kind:     by_value
    .group_segment_fixed_size: 0
    .kernarg_segment_align: 8
    .kernarg_segment_size: 32
    .language:       OpenCL C
    .language_version:
      - 2
      - 0
    .max_flat_workgroup_size: 256
    .name:           _ZN8rajaperf9polybench13poly_fdtd2d_2ILm32ELm8EEEvPdS2_ll
    .private_segment_fixed_size: 0
    .sgpr_count:     18
    .sgpr_spill_count: 0
    .symbol:         _ZN8rajaperf9polybench13poly_fdtd2d_2ILm32ELm8EEEvPdS2_ll.kd
    .uniform_work_group_size: 1
    .uses_dynamic_stack: false
    .vgpr_count:     8
    .vgpr_spill_count: 0
    .wavefront_size: 32
    .workgroup_processor_mode: 1
  - .args:
      - .address_space:  global
        .offset:         0
        .size:           8
        .value_kind:     global_buffer
      - .address_space:  global
        .offset:         8
        .size:           8
        .value_kind:     global_buffer
      - .offset:         16
        .size:           8
        .value_kind:     by_value
      - .offset:         24
        .size:           8
        .value_kind:     by_value
    .group_segment_fixed_size: 0
    .kernarg_segment_align: 8
    .kernarg_segment_size: 32
    .language:       OpenCL C
    .language_version:
      - 2
      - 0
    .max_flat_workgroup_size: 256
    .name:           _ZN8rajaperf9polybench13poly_fdtd2d_3ILm32ELm8EEEvPdS2_ll
    .private_segment_fixed_size: 0
    .sgpr_count:     18
    .sgpr_spill_count: 0
    .symbol:         _ZN8rajaperf9polybench13poly_fdtd2d_3ILm32ELm8EEEvPdS2_ll.kd
    .uniform_work_group_size: 1
    .uses_dynamic_stack: false
    .vgpr_count:     9
    .vgpr_spill_count: 0
    .wavefront_size: 32
    .workgroup_processor_mode: 1
  - .args:
      - .address_space:  global
        .offset:         0
        .size:           8
        .value_kind:     global_buffer
      - .address_space:  global
        .offset:         8
        .size:           8
        .value_kind:     global_buffer
      - .address_space:  global
        .offset:         16
        .size:           8
        .value_kind:     global_buffer
      - .offset:         24
        .size:           8
        .value_kind:     by_value
      - .offset:         32
        .size:           8
        .value_kind:     by_value
    .group_segment_fixed_size: 0
    .kernarg_segment_align: 8
    .kernarg_segment_size: 40
    .language:       OpenCL C
    .language_version:
      - 2
      - 0
    .max_flat_workgroup_size: 256
    .name:           _ZN8rajaperf9polybench13poly_fdtd2d_4ILm32ELm8EEEvPdS2_S2_ll
    .private_segment_fixed_size: 0
    .sgpr_count:     18
    .sgpr_spill_count: 0
    .symbol:         _ZN8rajaperf9polybench13poly_fdtd2d_4ILm32ELm8EEEvPdS2_S2_ll.kd
    .uniform_work_group_size: 1
    .uses_dynamic_stack: false
    .vgpr_count:     14
    .vgpr_spill_count: 0
    .wavefront_size: 32
    .workgroup_processor_mode: 1
  - .args:
      - .offset:         0
        .size:           8
        .value_kind:     by_value
      - .offset:         8
        .size:           32
        .value_kind:     by_value
    .group_segment_fixed_size: 0
    .kernarg_segment_align: 8
    .kernarg_segment_size: 40
    .language:       OpenCL C
    .language_version:
      - 2
      - 0
    .max_flat_workgroup_size: 256
    .name:           _ZN8rajaperf9polybench17poly_fdtd2d_1_lamILm256EZNS0_17POLYBENCH_FDTD_2D17runHipVariantImplILm256EEEvNS_9VariantIDEEUllE_EEvlT0_
    .private_segment_fixed_size: 0
    .sgpr_count:     18
    .sgpr_spill_count: 0
    .symbol:         _ZN8rajaperf9polybench17poly_fdtd2d_1_lamILm256EZNS0_17POLYBENCH_FDTD_2D17runHipVariantImplILm256EEEvNS_9VariantIDEEUllE_EEvlT0_.kd
    .uniform_work_group_size: 1
    .uses_dynamic_stack: false
    .vgpr_count:     4
    .vgpr_spill_count: 0
    .wavefront_size: 32
    .workgroup_processor_mode: 1
  - .args:
      - .offset:         0
        .size:           8
        .value_kind:     by_value
      - .offset:         8
        .size:           8
        .value_kind:     by_value
      - .offset:         16
        .size:           24
        .value_kind:     by_value
    .group_segment_fixed_size: 0
    .kernarg_segment_align: 8
    .kernarg_segment_size: 40
    .language:       OpenCL C
    .language_version:
      - 2
      - 0
    .max_flat_workgroup_size: 256
    .name:           _ZN8rajaperf9polybench17poly_fdtd2d_2_lamILm32ELm8EZNS0_17POLYBENCH_FDTD_2D17runHipVariantImplILm256EEEvNS_9VariantIDEEUlllE_EEvllT1_
    .private_segment_fixed_size: 0
    .sgpr_count:     18
    .sgpr_spill_count: 0
    .symbol:         _ZN8rajaperf9polybench17poly_fdtd2d_2_lamILm32ELm8EZNS0_17POLYBENCH_FDTD_2D17runHipVariantImplILm256EEEvNS_9VariantIDEEUlllE_EEvllT1_.kd
    .uniform_work_group_size: 1
    .uses_dynamic_stack: false
    .vgpr_count:     8
    .vgpr_spill_count: 0
    .wavefront_size: 32
    .workgroup_processor_mode: 1
  - .args:
      - .offset:         0
        .size:           8
        .value_kind:     by_value
      - .offset:         8
        .size:           8
        .value_kind:     by_value
      - .offset:         16
        .size:           24
        .value_kind:     by_value
    .group_segment_fixed_size: 0
    .kernarg_segment_align: 8
    .kernarg_segment_size: 40
    .language:       OpenCL C
    .language_version:
      - 2
      - 0
    .max_flat_workgroup_size: 256
    .name:           _ZN8rajaperf9polybench17poly_fdtd2d_3_lamILm32ELm8EZNS0_17POLYBENCH_FDTD_2D17runHipVariantImplILm256EEEvNS_9VariantIDEEUlllE0_EEvllT1_
    .private_segment_fixed_size: 0
    .sgpr_count:     18
    .sgpr_spill_count: 0
    .symbol:         _ZN8rajaperf9polybench17poly_fdtd2d_3_lamILm32ELm8EZNS0_17POLYBENCH_FDTD_2D17runHipVariantImplILm256EEEvNS_9VariantIDEEUlllE0_EEvllT1_.kd
    .uniform_work_group_size: 1
    .uses_dynamic_stack: false
    .vgpr_count:     9
    .vgpr_spill_count: 0
    .wavefront_size: 32
    .workgroup_processor_mode: 1
  - .args:
      - .offset:         0
        .size:           8
        .value_kind:     by_value
      - .offset:         8
        .size:           8
        .value_kind:     by_value
      - .offset:         16
        .size:           32
        .value_kind:     by_value
    .group_segment_fixed_size: 0
    .kernarg_segment_align: 8
    .kernarg_segment_size: 48
    .language:       OpenCL C
    .language_version:
      - 2
      - 0
    .max_flat_workgroup_size: 256
    .name:           _ZN8rajaperf9polybench17poly_fdtd2d_4_lamILm32ELm8EZNS0_17POLYBENCH_FDTD_2D17runHipVariantImplILm256EEEvNS_9VariantIDEEUlllE1_EEvllT1_
    .private_segment_fixed_size: 0
    .sgpr_count:     18
    .sgpr_spill_count: 0
    .symbol:         _ZN8rajaperf9polybench17poly_fdtd2d_4_lamILm32ELm8EZNS0_17POLYBENCH_FDTD_2D17runHipVariantImplILm256EEEvNS_9VariantIDEEUlllE1_EEvllT1_.kd
    .uniform_work_group_size: 1
    .uses_dynamic_stack: false
    .vgpr_count:     13
    .vgpr_spill_count: 0
    .wavefront_size: 32
    .workgroup_processor_mode: 1
  - .args:
      - .offset:         0
        .size:           88
        .value_kind:     by_value
      - .offset:         88
        .size:           8
        .value_kind:     by_value
      - .offset:         96
        .size:           8
        .value_kind:     by_value
      - .offset:         104
        .size:           1
        .value_kind:     by_value
    .group_segment_fixed_size: 0
    .kernarg_segment_align: 8
    .kernarg_segment_size: 108
    .language:       OpenCL C
    .language_version:
      - 2
      - 0
    .max_flat_workgroup_size: 256
    .name:           _ZN4RAJA6policy3hip4impl18forallp_hip_kernelINS1_8hip_execINS_17iteration_mapping6DirectENS_3hip11IndexGlobalILNS_9named_dimE0ELi256ELi0EEENS7_40AvoidDeviceMaxThreadOccupancyConcretizerINS7_34FractionOffsetOccupancyConcretizerINS_8FractionImLm1ELm1EEELln1EEEEELb1EEENS_9Iterators16numeric_iteratorIllPlEEZN8rajaperf9polybench17POLYBENCH_FDTD_2D17runHipVariantImplILm256EEEvNSM_9VariantIDEEUllE0_lNS_4expt15ForallParamPackIJEEES6_SA_TnNSt9enable_ifIXaasr3std10is_base_ofINS5_10DirectBaseET4_EE5valuegtsrT5_10block_sizeLi0EEmE4typeELm256EEEvT1_T0_T2_T3_
    .private_segment_fixed_size: 0
    .sgpr_count:     18
    .sgpr_spill_count: 0
    .symbol:         _ZN4RAJA6policy3hip4impl18forallp_hip_kernelINS1_8hip_execINS_17iteration_mapping6DirectENS_3hip11IndexGlobalILNS_9named_dimE0ELi256ELi0EEENS7_40AvoidDeviceMaxThreadOccupancyConcretizerINS7_34FractionOffsetOccupancyConcretizerINS_8FractionImLm1ELm1EEELln1EEEEELb1EEENS_9Iterators16numeric_iteratorIllPlEEZN8rajaperf9polybench17POLYBENCH_FDTD_2D17runHipVariantImplILm256EEEvNSM_9VariantIDEEUllE0_lNS_4expt15ForallParamPackIJEEES6_SA_TnNSt9enable_ifIXaasr3std10is_base_ofINS5_10DirectBaseET4_EE5valuegtsrT5_10block_sizeLi0EEmE4typeELm256EEEvT1_T0_T2_T3_.kd
    .uniform_work_group_size: 1
    .uses_dynamic_stack: false
    .vgpr_count:     4
    .vgpr_spill_count: 0
    .wavefront_size: 32
    .workgroup_processor_mode: 1
  - .args:
      - .offset:         0
        .size:           224
        .value_kind:     by_value
    .group_segment_fixed_size: 0
    .kernarg_segment_align: 8
    .kernarg_segment_size: 224
    .language:       OpenCL C
    .language_version:
      - 2
      - 0
    .max_flat_workgroup_size: 256
    .name:           _ZN4RAJA8internal22HipKernelLauncherFixedILi256ENS0_8LoopDataIN4camp5tupleIJNS_4SpanINS_9Iterators16numeric_iteratorIllPlEElEESA_EEENS4_IJEEENS3_9resources2v13HipEJZN8rajaperf9polybench17POLYBENCH_FDTD_2D17runHipVariantImplILm256EEEvNSG_9VariantIDEEUlllE2_EEENS0_24HipStatementListExecutorISM_NS3_4listIJNS_9statement3ForILl0ENS_6policy3hip11hip_indexerINS_17iteration_mapping6DirectELNS_23kernel_sync_requirementE0EJNS_3hip11IndexGlobalILNS_9named_dimE1ELi8ELi0EEEEEEJNSQ_ILl1ENST_ISV_LSW_0EJNSY_ILSZ_0ELi32ELi0EEEEEEJNSP_6LambdaILl0EJEEEEEEEEEEEENS0_9LoopTypesINSO_IJvvEEES1A_EEEEEEvT0_
    .private_segment_fixed_size: 0
    .sgpr_count:     18
    .sgpr_spill_count: 0
    .symbol:         _ZN4RAJA8internal22HipKernelLauncherFixedILi256ENS0_8LoopDataIN4camp5tupleIJNS_4SpanINS_9Iterators16numeric_iteratorIllPlEElEESA_EEENS4_IJEEENS3_9resources2v13HipEJZN8rajaperf9polybench17POLYBENCH_FDTD_2D17runHipVariantImplILm256EEEvNSG_9VariantIDEEUlllE2_EEENS0_24HipStatementListExecutorISM_NS3_4listIJNS_9statement3ForILl0ENS_6policy3hip11hip_indexerINS_17iteration_mapping6DirectELNS_23kernel_sync_requirementE0EJNS_3hip11IndexGlobalILNS_9named_dimE1ELi8ELi0EEEEEEJNSQ_ILl1ENST_ISV_LSW_0EJNSY_ILSZ_0ELi32ELi0EEEEEEJNSP_6LambdaILl0EJEEEEEEEEEEEENS0_9LoopTypesINSO_IJvvEEES1A_EEEEEEvT0_.kd
    .uniform_work_group_size: 1
    .uses_dynamic_stack: false
    .vgpr_count:     11
    .vgpr_spill_count: 0
    .wavefront_size: 32
    .workgroup_processor_mode: 1
  - .args:
      - .offset:         0
        .size:           224
        .value_kind:     by_value
    .group_segment_fixed_size: 0
    .kernarg_segment_align: 8
    .kernarg_segment_size: 224
    .language:       OpenCL C
    .language_version:
      - 2
      - 0
    .max_flat_workgroup_size: 256
    .name:           _ZN4RAJA8internal22HipKernelLauncherFixedILi256ENS0_8LoopDataIN4camp5tupleIJNS_4SpanINS_9Iterators16numeric_iteratorIllPlEElEESA_EEENS4_IJEEENS3_9resources2v13HipEJZN8rajaperf9polybench17POLYBENCH_FDTD_2D17runHipVariantImplILm256EEEvNSG_9VariantIDEEUlllE3_EEENS0_24HipStatementListExecutorISM_NS3_4listIJNS_9statement3ForILl0ENS_6policy3hip11hip_indexerINS_17iteration_mapping6DirectELNS_23kernel_sync_requirementE0EJNS_3hip11IndexGlobalILNS_9named_dimE1ELi8ELi0EEEEEEJNSQ_ILl1ENST_ISV_LSW_0EJNSY_ILSZ_0ELi32ELi0EEEEEEJNSP_6LambdaILl0EJEEEEEEEEEEEENS0_9LoopTypesINSO_IJvvEEES1A_EEEEEEvT0_
    .private_segment_fixed_size: 0
    .sgpr_count:     18
    .sgpr_spill_count: 0
    .symbol:         _ZN4RAJA8internal22HipKernelLauncherFixedILi256ENS0_8LoopDataIN4camp5tupleIJNS_4SpanINS_9Iterators16numeric_iteratorIllPlEElEESA_EEENS4_IJEEENS3_9resources2v13HipEJZN8rajaperf9polybench17POLYBENCH_FDTD_2D17runHipVariantImplILm256EEEvNSG_9VariantIDEEUlllE3_EEENS0_24HipStatementListExecutorISM_NS3_4listIJNS_9statement3ForILl0ENS_6policy3hip11hip_indexerINS_17iteration_mapping6DirectELNS_23kernel_sync_requirementE0EJNS_3hip11IndexGlobalILNS_9named_dimE1ELi8ELi0EEEEEEJNSQ_ILl1ENST_ISV_LSW_0EJNSY_ILSZ_0ELi32ELi0EEEEEEJNSP_6LambdaILl0EJEEEEEEEEEEEENS0_9LoopTypesINSO_IJvvEEES1A_EEEEEEvT0_.kd
    .uniform_work_group_size: 1
    .uses_dynamic_stack: false
    .vgpr_count:     11
    .vgpr_spill_count: 0
    .wavefront_size: 32
    .workgroup_processor_mode: 1
  - .args:
      - .offset:         0
        .size:           296
        .value_kind:     by_value
    .group_segment_fixed_size: 0
    .kernarg_segment_align: 8
    .kernarg_segment_size: 296
    .language:       OpenCL C
    .language_version:
      - 2
      - 0
    .max_flat_workgroup_size: 256
    .name:           _ZN4RAJA8internal22HipKernelLauncherFixedILi256ENS0_8LoopDataIN4camp5tupleIJNS_4SpanINS_9Iterators16numeric_iteratorIllPlEElEESA_EEENS4_IJEEENS3_9resources2v13HipEJZN8rajaperf9polybench17POLYBENCH_FDTD_2D17runHipVariantImplILm256EEEvNSG_9VariantIDEEUlllE4_EEENS0_24HipStatementListExecutorISM_NS3_4listIJNS_9statement3ForILl0ENS_6policy3hip11hip_indexerINS_17iteration_mapping6DirectELNS_23kernel_sync_requirementE0EJNS_3hip11IndexGlobalILNS_9named_dimE1ELi8ELi0EEEEEEJNSQ_ILl1ENST_ISV_LSW_0EJNSY_ILSZ_0ELi32ELi0EEEEEEJNSP_6LambdaILl0EJEEEEEEEEEEEENS0_9LoopTypesINSO_IJvvEEES1A_EEEEEEvT0_
    .private_segment_fixed_size: 0
    .sgpr_count:     18
    .sgpr_spill_count: 0
    .symbol:         _ZN4RAJA8internal22HipKernelLauncherFixedILi256ENS0_8LoopDataIN4camp5tupleIJNS_4SpanINS_9Iterators16numeric_iteratorIllPlEElEESA_EEENS4_IJEEENS3_9resources2v13HipEJZN8rajaperf9polybench17POLYBENCH_FDTD_2D17runHipVariantImplILm256EEEvNSG_9VariantIDEEUlllE4_EEENS0_24HipStatementListExecutorISM_NS3_4listIJNS_9statement3ForILl0ENS_6policy3hip11hip_indexerINS_17iteration_mapping6DirectELNS_23kernel_sync_requirementE0EJNS_3hip11IndexGlobalILNS_9named_dimE1ELi8ELi0EEEEEEJNSQ_ILl1ENST_ISV_LSW_0EJNSY_ILSZ_0ELi32ELi0EEEEEEJNSP_6LambdaILl0EJEEEEEEEEEEEENS0_9LoopTypesINSO_IJvvEEES1A_EEEEEEvT0_.kd
    .uniform_work_group_size: 1
    .uses_dynamic_stack: false
    .vgpr_count:     15
    .vgpr_spill_count: 0
    .wavefront_size: 32
    .workgroup_processor_mode: 1
amdhsa.target:   amdgcn-amd-amdhsa--gfx1100
amdhsa.version:
  - 1
  - 2
...

	.end_amdgpu_metadata
